;; amdgpu-corpus repo=ROCm/rocFFT kind=compiled arch=gfx1201 opt=O3
	.text
	.amdgcn_target "amdgcn-amd-amdhsa--gfx1201"
	.amdhsa_code_object_version 6
	.protected	fft_rtc_back_len561_factors_17_3_11_wgs_255_tpt_51_halfLds_dp_ip_CI_sbrr_dirReg ; -- Begin function fft_rtc_back_len561_factors_17_3_11_wgs_255_tpt_51_halfLds_dp_ip_CI_sbrr_dirReg
	.globl	fft_rtc_back_len561_factors_17_3_11_wgs_255_tpt_51_halfLds_dp_ip_CI_sbrr_dirReg
	.p2align	8
	.type	fft_rtc_back_len561_factors_17_3_11_wgs_255_tpt_51_halfLds_dp_ip_CI_sbrr_dirReg,@function
fft_rtc_back_len561_factors_17_3_11_wgs_255_tpt_51_halfLds_dp_ip_CI_sbrr_dirReg: ; @fft_rtc_back_len561_factors_17_3_11_wgs_255_tpt_51_halfLds_dp_ip_CI_sbrr_dirReg
; %bb.0:
	s_clause 0x1
	s_load_b64 s[12:13], s[0:1], 0x18
	s_load_b128 s[4:7], s[0:1], 0x0
	v_mul_u32_u24_e32 v1, 0x506, v0
	v_mov_b32_e32 v3, 0
	s_load_b64 s[10:11], s[0:1], 0x50
	s_wait_kmcnt 0x0
	s_load_b64 s[8:9], s[12:13], 0x0
	v_lshrrev_b32_e32 v1, 16, v1
	v_cmp_lt_u64_e64 s2, s[6:7], 2
	s_delay_alu instid0(VALU_DEP_2) | instskip(SKIP_2) | instid1(VALU_DEP_4)
	v_mad_co_u64_u32 v[68:69], null, ttmp9, 5, v[1:2]
	v_mov_b32_e32 v1, 0
	v_dual_mov_b32 v2, 0 :: v_dual_mov_b32 v69, v3
	s_and_b32 vcc_lo, exec_lo, s2
	s_delay_alu instid0(VALU_DEP_1)
	v_dual_mov_b32 v7, v68 :: v_dual_mov_b32 v8, v69
	s_cbranch_vccnz .LBB0_8
; %bb.1:
	s_load_b64 s[2:3], s[0:1], 0x10
	v_mov_b32_e32 v1, 0
	v_dual_mov_b32 v2, 0 :: v_dual_mov_b32 v5, v68
	v_mov_b32_e32 v6, v69
	s_add_nc_u64 s[14:15], s[12:13], 8
	s_mov_b64 s[16:17], 1
	s_wait_kmcnt 0x0
	s_add_nc_u64 s[18:19], s[2:3], 8
	s_mov_b32 s3, 0
.LBB0_2:                                ; =>This Inner Loop Header: Depth=1
	s_load_b64 s[20:21], s[18:19], 0x0
                                        ; implicit-def: $vgpr7_vgpr8
	s_mov_b32 s2, exec_lo
	s_wait_kmcnt 0x0
	v_or_b32_e32 v4, s21, v6
	s_delay_alu instid0(VALU_DEP_1)
	v_cmpx_ne_u64_e32 0, v[3:4]
	s_wait_alu 0xfffe
	s_xor_b32 s22, exec_lo, s2
	s_cbranch_execz .LBB0_4
; %bb.3:                                ;   in Loop: Header=BB0_2 Depth=1
	s_cvt_f32_u32 s2, s20
	s_cvt_f32_u32 s23, s21
	s_sub_nc_u64 s[26:27], 0, s[20:21]
	s_wait_alu 0xfffe
	s_delay_alu instid0(SALU_CYCLE_1) | instskip(SKIP_1) | instid1(SALU_CYCLE_2)
	s_fmamk_f32 s2, s23, 0x4f800000, s2
	s_wait_alu 0xfffe
	v_s_rcp_f32 s2, s2
	s_delay_alu instid0(TRANS32_DEP_1) | instskip(SKIP_1) | instid1(SALU_CYCLE_2)
	s_mul_f32 s2, s2, 0x5f7ffffc
	s_wait_alu 0xfffe
	s_mul_f32 s23, s2, 0x2f800000
	s_wait_alu 0xfffe
	s_delay_alu instid0(SALU_CYCLE_2) | instskip(SKIP_1) | instid1(SALU_CYCLE_2)
	s_trunc_f32 s23, s23
	s_wait_alu 0xfffe
	s_fmamk_f32 s2, s23, 0xcf800000, s2
	s_cvt_u32_f32 s25, s23
	s_wait_alu 0xfffe
	s_delay_alu instid0(SALU_CYCLE_1) | instskip(SKIP_1) | instid1(SALU_CYCLE_2)
	s_cvt_u32_f32 s24, s2
	s_wait_alu 0xfffe
	s_mul_u64 s[28:29], s[26:27], s[24:25]
	s_wait_alu 0xfffe
	s_mul_hi_u32 s31, s24, s29
	s_mul_i32 s30, s24, s29
	s_mul_hi_u32 s2, s24, s28
	s_mul_i32 s33, s25, s28
	s_wait_alu 0xfffe
	s_add_nc_u64 s[30:31], s[2:3], s[30:31]
	s_mul_hi_u32 s23, s25, s28
	s_mul_hi_u32 s34, s25, s29
	s_add_co_u32 s2, s30, s33
	s_wait_alu 0xfffe
	s_add_co_ci_u32 s2, s31, s23
	s_mul_i32 s28, s25, s29
	s_add_co_ci_u32 s29, s34, 0
	s_wait_alu 0xfffe
	s_add_nc_u64 s[28:29], s[2:3], s[28:29]
	s_wait_alu 0xfffe
	v_add_co_u32 v4, s2, s24, s28
	s_delay_alu instid0(VALU_DEP_1) | instskip(SKIP_1) | instid1(VALU_DEP_1)
	s_cmp_lg_u32 s2, 0
	s_add_co_ci_u32 s25, s25, s29
	v_readfirstlane_b32 s24, v4
	s_wait_alu 0xfffe
	s_delay_alu instid0(VALU_DEP_1)
	s_mul_u64 s[26:27], s[26:27], s[24:25]
	s_wait_alu 0xfffe
	s_mul_hi_u32 s29, s24, s27
	s_mul_i32 s28, s24, s27
	s_mul_hi_u32 s2, s24, s26
	s_mul_i32 s30, s25, s26
	s_wait_alu 0xfffe
	s_add_nc_u64 s[28:29], s[2:3], s[28:29]
	s_mul_hi_u32 s23, s25, s26
	s_mul_hi_u32 s24, s25, s27
	s_wait_alu 0xfffe
	s_add_co_u32 s2, s28, s30
	s_add_co_ci_u32 s2, s29, s23
	s_mul_i32 s26, s25, s27
	s_add_co_ci_u32 s27, s24, 0
	s_wait_alu 0xfffe
	s_add_nc_u64 s[26:27], s[2:3], s[26:27]
	s_wait_alu 0xfffe
	v_add_co_u32 v4, s2, v4, s26
	s_delay_alu instid0(VALU_DEP_1) | instskip(SKIP_1) | instid1(VALU_DEP_1)
	s_cmp_lg_u32 s2, 0
	s_add_co_ci_u32 s2, s25, s27
	v_mul_hi_u32 v13, v5, v4
	s_wait_alu 0xfffe
	v_mad_co_u64_u32 v[7:8], null, v5, s2, 0
	v_mad_co_u64_u32 v[9:10], null, v6, v4, 0
	;; [unrolled: 1-line block ×3, first 2 shown]
	s_delay_alu instid0(VALU_DEP_3) | instskip(SKIP_1) | instid1(VALU_DEP_4)
	v_add_co_u32 v4, vcc_lo, v13, v7
	s_wait_alu 0xfffd
	v_add_co_ci_u32_e32 v7, vcc_lo, 0, v8, vcc_lo
	s_delay_alu instid0(VALU_DEP_2) | instskip(SKIP_1) | instid1(VALU_DEP_2)
	v_add_co_u32 v4, vcc_lo, v4, v9
	s_wait_alu 0xfffd
	v_add_co_ci_u32_e32 v4, vcc_lo, v7, v10, vcc_lo
	s_wait_alu 0xfffd
	v_add_co_ci_u32_e32 v7, vcc_lo, 0, v12, vcc_lo
	s_delay_alu instid0(VALU_DEP_2) | instskip(SKIP_1) | instid1(VALU_DEP_2)
	v_add_co_u32 v4, vcc_lo, v4, v11
	s_wait_alu 0xfffd
	v_add_co_ci_u32_e32 v9, vcc_lo, 0, v7, vcc_lo
	s_delay_alu instid0(VALU_DEP_2) | instskip(SKIP_1) | instid1(VALU_DEP_3)
	v_mul_lo_u32 v10, s21, v4
	v_mad_co_u64_u32 v[7:8], null, s20, v4, 0
	v_mul_lo_u32 v11, s20, v9
	s_delay_alu instid0(VALU_DEP_2) | instskip(NEXT) | instid1(VALU_DEP_2)
	v_sub_co_u32 v7, vcc_lo, v5, v7
	v_add3_u32 v8, v8, v11, v10
	s_delay_alu instid0(VALU_DEP_1) | instskip(SKIP_1) | instid1(VALU_DEP_1)
	v_sub_nc_u32_e32 v10, v6, v8
	s_wait_alu 0xfffd
	v_subrev_co_ci_u32_e64 v10, s2, s21, v10, vcc_lo
	v_add_co_u32 v11, s2, v4, 2
	s_wait_alu 0xf1ff
	v_add_co_ci_u32_e64 v12, s2, 0, v9, s2
	v_sub_co_u32 v13, s2, v7, s20
	v_sub_co_ci_u32_e32 v8, vcc_lo, v6, v8, vcc_lo
	s_wait_alu 0xf1ff
	v_subrev_co_ci_u32_e64 v10, s2, 0, v10, s2
	s_delay_alu instid0(VALU_DEP_3) | instskip(NEXT) | instid1(VALU_DEP_3)
	v_cmp_le_u32_e32 vcc_lo, s20, v13
	v_cmp_eq_u32_e64 s2, s21, v8
	s_wait_alu 0xfffd
	v_cndmask_b32_e64 v13, 0, -1, vcc_lo
	v_cmp_le_u32_e32 vcc_lo, s21, v10
	s_wait_alu 0xfffd
	v_cndmask_b32_e64 v14, 0, -1, vcc_lo
	v_cmp_le_u32_e32 vcc_lo, s20, v7
	;; [unrolled: 3-line block ×3, first 2 shown]
	s_wait_alu 0xfffd
	v_cndmask_b32_e64 v15, 0, -1, vcc_lo
	v_cmp_eq_u32_e32 vcc_lo, s21, v10
	s_wait_alu 0xf1ff
	s_delay_alu instid0(VALU_DEP_2)
	v_cndmask_b32_e64 v7, v15, v7, s2
	s_wait_alu 0xfffd
	v_cndmask_b32_e32 v10, v14, v13, vcc_lo
	v_add_co_u32 v13, vcc_lo, v4, 1
	s_wait_alu 0xfffd
	v_add_co_ci_u32_e32 v14, vcc_lo, 0, v9, vcc_lo
	s_delay_alu instid0(VALU_DEP_3) | instskip(SKIP_2) | instid1(VALU_DEP_3)
	v_cmp_ne_u32_e32 vcc_lo, 0, v10
	s_wait_alu 0xfffd
	v_cndmask_b32_e32 v10, v13, v11, vcc_lo
	v_cndmask_b32_e32 v8, v14, v12, vcc_lo
	v_cmp_ne_u32_e32 vcc_lo, 0, v7
	s_wait_alu 0xfffd
	s_delay_alu instid0(VALU_DEP_2)
	v_dual_cndmask_b32 v7, v4, v10 :: v_dual_cndmask_b32 v8, v9, v8
.LBB0_4:                                ;   in Loop: Header=BB0_2 Depth=1
	s_wait_alu 0xfffe
	s_and_not1_saveexec_b32 s2, s22
	s_cbranch_execz .LBB0_6
; %bb.5:                                ;   in Loop: Header=BB0_2 Depth=1
	v_cvt_f32_u32_e32 v4, s20
	s_sub_co_i32 s22, 0, s20
	s_delay_alu instid0(VALU_DEP_1) | instskip(NEXT) | instid1(TRANS32_DEP_1)
	v_rcp_iflag_f32_e32 v4, v4
	v_mul_f32_e32 v4, 0x4f7ffffe, v4
	s_delay_alu instid0(VALU_DEP_1) | instskip(SKIP_1) | instid1(VALU_DEP_1)
	v_cvt_u32_f32_e32 v4, v4
	s_wait_alu 0xfffe
	v_mul_lo_u32 v7, s22, v4
	s_delay_alu instid0(VALU_DEP_1) | instskip(NEXT) | instid1(VALU_DEP_1)
	v_mul_hi_u32 v7, v4, v7
	v_add_nc_u32_e32 v4, v4, v7
	s_delay_alu instid0(VALU_DEP_1) | instskip(NEXT) | instid1(VALU_DEP_1)
	v_mul_hi_u32 v4, v5, v4
	v_mul_lo_u32 v7, v4, s20
	v_add_nc_u32_e32 v8, 1, v4
	s_delay_alu instid0(VALU_DEP_2) | instskip(NEXT) | instid1(VALU_DEP_1)
	v_sub_nc_u32_e32 v7, v5, v7
	v_subrev_nc_u32_e32 v9, s20, v7
	v_cmp_le_u32_e32 vcc_lo, s20, v7
	s_wait_alu 0xfffd
	s_delay_alu instid0(VALU_DEP_2) | instskip(NEXT) | instid1(VALU_DEP_1)
	v_dual_cndmask_b32 v7, v7, v9 :: v_dual_cndmask_b32 v4, v4, v8
	v_cmp_le_u32_e32 vcc_lo, s20, v7
	s_delay_alu instid0(VALU_DEP_2) | instskip(SKIP_1) | instid1(VALU_DEP_1)
	v_add_nc_u32_e32 v8, 1, v4
	s_wait_alu 0xfffd
	v_dual_cndmask_b32 v7, v4, v8 :: v_dual_mov_b32 v8, v3
.LBB0_6:                                ;   in Loop: Header=BB0_2 Depth=1
	s_wait_alu 0xfffe
	s_or_b32 exec_lo, exec_lo, s2
	s_load_b64 s[22:23], s[14:15], 0x0
	s_delay_alu instid0(VALU_DEP_1)
	v_mul_lo_u32 v4, v8, s20
	v_mul_lo_u32 v11, v7, s21
	v_mad_co_u64_u32 v[9:10], null, v7, s20, 0
	s_add_nc_u64 s[16:17], s[16:17], 1
	s_add_nc_u64 s[14:15], s[14:15], 8
	s_wait_alu 0xfffe
	v_cmp_ge_u64_e64 s2, s[16:17], s[6:7]
	s_add_nc_u64 s[18:19], s[18:19], 8
	s_delay_alu instid0(VALU_DEP_2) | instskip(NEXT) | instid1(VALU_DEP_3)
	v_add3_u32 v4, v10, v11, v4
	v_sub_co_u32 v5, vcc_lo, v5, v9
	s_wait_alu 0xfffd
	s_delay_alu instid0(VALU_DEP_2) | instskip(SKIP_3) | instid1(VALU_DEP_2)
	v_sub_co_ci_u32_e32 v4, vcc_lo, v6, v4, vcc_lo
	s_and_b32 vcc_lo, exec_lo, s2
	s_wait_kmcnt 0x0
	v_mul_lo_u32 v6, s23, v5
	v_mul_lo_u32 v4, s22, v4
	v_mad_co_u64_u32 v[1:2], null, s22, v5, v[1:2]
	s_delay_alu instid0(VALU_DEP_1)
	v_add3_u32 v2, v6, v2, v4
	s_wait_alu 0xfffe
	s_cbranch_vccnz .LBB0_8
; %bb.7:                                ;   in Loop: Header=BB0_2 Depth=1
	v_dual_mov_b32 v5, v7 :: v_dual_mov_b32 v6, v8
	s_branch .LBB0_2
.LBB0_8:
	s_lshl_b64 s[2:3], s[6:7], 3
	v_mul_hi_u32 v3, 0x5050506, v0
	s_wait_alu 0xfffe
	s_add_nc_u64 s[2:3], s[12:13], s[2:3]
	v_mov_b32_e32 v158, 0
	s_load_b64 s[2:3], s[2:3], 0x0
	s_load_b64 s[0:1], s[0:1], 0x20
                                        ; implicit-def: $vgpr14_vgpr15
                                        ; implicit-def: $vgpr18_vgpr19
                                        ; implicit-def: $vgpr22_vgpr23
                                        ; implicit-def: $vgpr30_vgpr31
                                        ; implicit-def: $vgpr38_vgpr39
                                        ; implicit-def: $vgpr34_vgpr35
                                        ; implicit-def: $vgpr58_vgpr59
                                        ; implicit-def: $vgpr62_vgpr63
                                        ; implicit-def: $vgpr66_vgpr67
                                        ; implicit-def: $vgpr54_vgpr55
                                        ; implicit-def: $vgpr50_vgpr51
                                        ; implicit-def: $vgpr46_vgpr47
                                        ; implicit-def: $vgpr42_vgpr43
                                        ; implicit-def: $vgpr26_vgpr27
                                        ; implicit-def: $vgpr10_vgpr11
	s_wait_kmcnt 0x0
	v_mul_lo_u32 v4, s2, v8
	v_mul_lo_u32 v5, s3, v7
	v_mad_co_u64_u32 v[84:85], null, s2, v7, v[1:2]
	v_mul_u32_u24_e32 v1, 51, v3
	v_cmp_gt_u64_e32 vcc_lo, s[0:1], v[7:8]
                                        ; implicit-def: $vgpr2_vgpr3
                                        ; implicit-def: $vgpr6_vgpr7
	s_delay_alu instid0(VALU_DEP_2) | instskip(NEXT) | instid1(VALU_DEP_4)
	v_sub_nc_u32_e32 v159, v0, v1
	v_add3_u32 v85, v5, v85, v4
	s_and_saveexec_b32 s1, vcc_lo
	s_cbranch_execz .LBB0_12
; %bb.9:
	s_mov_b32 s2, exec_lo
                                        ; implicit-def: $vgpr8_vgpr9
                                        ; implicit-def: $vgpr24_vgpr25
                                        ; implicit-def: $vgpr40_vgpr41
                                        ; implicit-def: $vgpr44_vgpr45
                                        ; implicit-def: $vgpr48_vgpr49
                                        ; implicit-def: $vgpr52_vgpr53
                                        ; implicit-def: $vgpr64_vgpr65
                                        ; implicit-def: $vgpr60_vgpr61
                                        ; implicit-def: $vgpr56_vgpr57
                                        ; implicit-def: $vgpr32_vgpr33
                                        ; implicit-def: $vgpr36_vgpr37
                                        ; implicit-def: $vgpr28_vgpr29
                                        ; implicit-def: $vgpr20_vgpr21
                                        ; implicit-def: $vgpr16_vgpr17
                                        ; implicit-def: $vgpr12_vgpr13
                                        ; implicit-def: $vgpr4_vgpr5
                                        ; implicit-def: $vgpr0_vgpr1
	v_cmpx_gt_u32_e32 33, v159
	s_cbranch_execz .LBB0_11
; %bb.10:
	v_add_nc_u32_e32 v7, 33, v159
	v_mad_co_u64_u32 v[0:1], null, s8, v159, 0
	v_add_nc_u32_e32 v11, 0x63, v159
	v_add_nc_u32_e32 v17, 0xa5, v159
	s_delay_alu instid0(VALU_DEP_4) | instskip(SKIP_1) | instid1(VALU_DEP_4)
	v_mad_co_u64_u32 v[2:3], null, s8, v7, 0
	v_add_nc_u32_e32 v10, 0x42, v159
	v_mad_co_u64_u32 v[12:13], null, s8, v11, 0
	v_add_nc_u32_e32 v16, 0x84, v159
	v_add_nc_u32_e32 v18, 0xc6, v159
	;; [unrolled: 1-line block ×3, first 2 shown]
	v_mad_co_u64_u32 v[4:5], null, s9, v159, v[1:2]
	v_mov_b32_e32 v1, v3
	v_mad_co_u64_u32 v[5:6], null, s8, v10, 0
	v_mad_co_u64_u32 v[14:15], null, s8, v16, 0
	s_delay_alu instid0(VALU_DEP_3) | instskip(SKIP_3) | instid1(VALU_DEP_3)
	v_mad_co_u64_u32 v[7:8], null, s9, v7, v[1:2]
	v_mov_b32_e32 v1, v4
	v_lshlrev_b64_e32 v[8:9], 4, v[84:85]
	v_dual_mov_b32 v4, v6 :: v_dual_add_nc_u32 v69, 0x210, v159
	v_lshlrev_b64_e32 v[0:1], 4, v[0:1]
	v_mov_b32_e32 v3, v7
	s_delay_alu instid0(VALU_DEP_4) | instskip(SKIP_2) | instid1(VALU_DEP_3)
	v_add_co_u32 v21, s0, s10, v8
	s_wait_alu 0xf1ff
	v_add_co_ci_u32_e64 v22, s0, s11, v9, s0
	v_lshlrev_b64_e32 v[2:3], 4, v[2:3]
	s_delay_alu instid0(VALU_DEP_3) | instskip(SKIP_1) | instid1(VALU_DEP_3)
	v_add_co_u32 v0, s0, v21, v0
	s_wait_alu 0xf1ff
	v_add_co_ci_u32_e64 v1, s0, v22, v1, s0
	v_mad_co_u64_u32 v[6:7], null, s9, v10, v[4:5]
	s_delay_alu instid0(VALU_DEP_4) | instskip(SKIP_3) | instid1(VALU_DEP_2)
	v_add_co_u32 v2, s0, v21, v2
	v_mov_b32_e32 v4, v13
	s_wait_alu 0xf1ff
	v_add_co_ci_u32_e64 v3, s0, v22, v3, s0
	v_mad_co_u64_u32 v[7:8], null, s9, v11, v[4:5]
	s_clause 0x1
	global_load_b128 v[8:11], v[0:1], off
	global_load_b128 v[24:27], v[2:3], off
	v_mov_b32_e32 v2, v15
	v_mad_co_u64_u32 v[3:4], null, s8, v17, 0
	v_lshlrev_b64_e32 v[0:1], 4, v[5:6]
	v_mov_b32_e32 v13, v7
	s_delay_alu instid0(VALU_DEP_3) | instskip(NEXT) | instid1(VALU_DEP_4)
	v_mad_co_u64_u32 v[5:6], null, s9, v16, v[2:3]
	v_mov_b32_e32 v2, v4
	s_delay_alu instid0(VALU_DEP_3)
	v_lshlrev_b64_e32 v[6:7], 4, v[12:13]
	v_add_co_u32 v0, s0, v21, v0
	v_mad_co_u64_u32 v[12:13], null, s8, v18, 0
	v_mov_b32_e32 v15, v5
	v_mad_co_u64_u32 v[4:5], null, s9, v17, v[2:3]
	s_wait_alu 0xf1ff
	v_add_co_ci_u32_e64 v1, s0, v22, v1, s0
	v_add_co_u32 v5, s0, v21, v6
	v_mov_b32_e32 v2, v13
	s_wait_alu 0xf1ff
	v_add_co_ci_u32_e64 v6, s0, v22, v7, s0
	v_add_nc_u32_e32 v7, 0xe7, v159
	v_lshlrev_b64_e32 v[14:15], 4, v[14:15]
	v_lshlrev_b64_e32 v[3:4], 4, v[3:4]
	s_delay_alu instid0(VALU_DEP_3) | instskip(NEXT) | instid1(VALU_DEP_3)
	v_mad_co_u64_u32 v[16:17], null, s8, v7, 0
	v_add_co_u32 v14, s0, v21, v14
	s_delay_alu instid0(VALU_DEP_3) | instskip(SKIP_2) | instid1(VALU_DEP_4)
	v_mad_co_u64_u32 v[18:19], null, s9, v18, v[2:3]
	s_wait_alu 0xf1ff
	v_add_co_ci_u32_e64 v15, s0, v22, v15, s0
	v_mov_b32_e32 v2, v17
	v_add_co_u32 v3, s0, v21, v3
	s_delay_alu instid0(VALU_DEP_4) | instskip(SKIP_2) | instid1(VALU_DEP_3)
	v_dual_mov_b32 v13, v18 :: v_dual_add_nc_u32 v20, 0x108, v159
	s_wait_alu 0xf1ff
	v_add_co_ci_u32_e64 v4, s0, v22, v4, s0
	v_mad_co_u64_u32 v[17:18], null, s9, v7, v[2:3]
	s_delay_alu instid0(VALU_DEP_3)
	v_mad_co_u64_u32 v[18:19], null, s8, v20, 0
	v_add_nc_u32_e32 v7, 0x129, v159
	s_clause 0x3
	global_load_b128 v[40:43], v[0:1], off
	global_load_b128 v[44:47], v[5:6], off
	;; [unrolled: 1-line block ×4, first 2 shown]
	v_lshlrev_b64_e32 v[0:1], 4, v[12:13]
	v_lshlrev_b64_e32 v[5:6], 4, v[16:17]
	v_mov_b32_e32 v2, v19
	v_mad_co_u64_u32 v[3:4], null, s8, v7, 0
	v_add_nc_u32_e32 v17, 0x14a, v159
	v_add_co_u32 v0, s0, v21, v0
	s_wait_alu 0xf1ff
	v_add_co_ci_u32_e64 v1, s0, v22, v1, s0
	s_delay_alu instid0(VALU_DEP_4)
	v_mad_co_u64_u32 v[12:13], null, s9, v20, v[2:3]
	v_mov_b32_e32 v2, v4
	v_add_co_u32 v4, s0, v21, v5
	v_mad_co_u64_u32 v[13:14], null, s8, v17, 0
	s_wait_alu 0xf1ff
	v_add_co_ci_u32_e64 v5, s0, v22, v6, s0
	v_mad_co_u64_u32 v[6:7], null, s9, v7, v[2:3]
	v_dual_mov_b32 v19, v12 :: v_dual_add_nc_u32 v20, 0x16b, v159
	s_delay_alu instid0(VALU_DEP_4)
	v_mov_b32_e32 v2, v14
	s_clause 0x1
	global_load_b128 v[64:67], v[0:1], off
	global_load_b128 v[60:63], v[4:5], off
	v_mad_co_u64_u32 v[15:16], null, s8, v20, 0
	v_mov_b32_e32 v4, v6
	v_lshlrev_b64_e32 v[0:1], 4, v[18:19]
	v_mad_co_u64_u32 v[17:18], null, s9, v17, v[2:3]
	v_add_nc_u32_e32 v18, 0x1ad, v159
	s_delay_alu instid0(VALU_DEP_4) | instskip(SKIP_4) | instid1(VALU_DEP_3)
	v_lshlrev_b64_e32 v[3:4], 4, v[3:4]
	v_mov_b32_e32 v2, v16
	v_add_co_u32 v0, s0, v21, v0
	s_wait_alu 0xf1ff
	v_add_co_ci_u32_e64 v1, s0, v22, v1, s0
	v_mad_co_u64_u32 v[5:6], null, s9, v20, v[2:3]
	v_dual_mov_b32 v14, v17 :: v_dual_add_nc_u32 v17, 0x18c, v159
	v_add_co_u32 v2, s0, v21, v3
	s_wait_alu 0xf1ff
	v_add_co_ci_u32_e64 v3, s0, v22, v4, s0
	s_delay_alu instid0(VALU_DEP_3)
	v_lshlrev_b64_e32 v[6:7], 4, v[13:14]
	v_mad_co_u64_u32 v[12:13], null, s8, v17, 0
	v_mov_b32_e32 v16, v5
	s_clause 0x1
	global_load_b128 v[56:59], v[0:1], off
	global_load_b128 v[32:35], v[2:3], off
	v_add_nc_u32_e32 v20, 0x1ce, v159
	v_add_co_u32 v0, s0, v21, v6
	v_lshlrev_b64_e32 v[3:4], 4, v[15:16]
	v_mov_b32_e32 v2, v13
	s_wait_alu 0xf1ff
	v_add_co_ci_u32_e64 v1, s0, v22, v7, s0
	v_mad_co_u64_u32 v[14:15], null, s8, v20, 0
	s_delay_alu instid0(VALU_DEP_3) | instskip(SKIP_4) | instid1(VALU_DEP_4)
	v_mad_co_u64_u32 v[5:6], null, s9, v17, v[2:3]
	v_mad_co_u64_u32 v[6:7], null, s8, v18, 0
	v_add_co_u32 v2, s0, v21, v3
	s_wait_alu 0xf1ff
	v_add_co_ci_u32_e64 v3, s0, v22, v4, s0
	v_mov_b32_e32 v13, v5
	s_delay_alu instid0(VALU_DEP_4)
	v_dual_mov_b32 v5, v15 :: v_dual_mov_b32 v4, v7
	v_mad_co_u64_u32 v[16:17], null, s8, v23, 0
	s_clause 0x1
	global_load_b128 v[36:39], v[0:1], off
	global_load_b128 v[28:31], v[2:3], off
	v_lshlrev_b64_e32 v[1:2], 4, v[12:13]
	v_mad_co_u64_u32 v[18:19], null, s9, v18, v[4:5]
	v_mad_co_u64_u32 v[4:5], null, s9, v20, v[5:6]
	;; [unrolled: 1-line block ×3, first 2 shown]
	s_delay_alu instid0(VALU_DEP_3) | instskip(NEXT) | instid1(VALU_DEP_3)
	v_dual_mov_b32 v0, v17 :: v_dual_mov_b32 v7, v18
	v_mov_b32_e32 v15, v4
	s_delay_alu instid0(VALU_DEP_2) | instskip(NEXT) | instid1(VALU_DEP_4)
	v_mad_co_u64_u32 v[3:4], null, s9, v23, v[0:1]
	v_mov_b32_e32 v0, v20
	v_add_co_u32 v1, s0, v21, v1
	v_lshlrev_b64_e32 v[4:5], 4, v[6:7]
	v_lshlrev_b64_e32 v[12:13], 4, v[14:15]
	s_wait_alu 0xf1ff
	v_add_co_ci_u32_e64 v2, s0, v22, v2, s0
	v_mad_co_u64_u32 v[6:7], null, s9, v69, v[0:1]
	v_mov_b32_e32 v17, v3
	v_add_co_u32 v3, s0, v21, v4
	s_wait_alu 0xf1ff
	v_add_co_ci_u32_e64 v4, s0, v22, v5, s0
	s_delay_alu instid0(VALU_DEP_3) | instskip(SKIP_4) | instid1(VALU_DEP_3)
	v_lshlrev_b64_e32 v[14:15], 4, v[16:17]
	v_mov_b32_e32 v20, v6
	v_add_co_u32 v5, s0, v21, v12
	s_wait_alu 0xf1ff
	v_add_co_ci_u32_e64 v6, s0, v22, v13, s0
	v_lshlrev_b64_e32 v[12:13], 4, v[19:20]
	v_add_co_u32 v69, s0, v21, v14
	s_wait_alu 0xf1ff
	v_add_co_ci_u32_e64 v70, s0, v22, v15, s0
	s_delay_alu instid0(VALU_DEP_3)
	v_add_co_u32 v71, s0, v21, v12
	s_wait_alu 0xf1ff
	v_add_co_ci_u32_e64 v72, s0, v22, v13, s0
	s_clause 0x4
	global_load_b128 v[20:23], v[1:2], off
	global_load_b128 v[16:19], v[3:4], off
	;; [unrolled: 1-line block ×5, first 2 shown]
.LBB0_11:
	s_wait_alu 0xfffe
	s_or_b32 exec_lo, exec_lo, s2
	v_mov_b32_e32 v158, v159
.LBB0_12:
	s_wait_alu 0xfffe
	s_or_b32 exec_lo, exec_lo, s1
	s_wait_loadcnt 0x0
	v_add_f64_e64 v[71:72], v[26:27], -v[2:3]
	s_mov_b32 s2, 0x6c9a05f6
	s_mov_b32 s6, 0x4363dd80
	;; [unrolled: 1-line block ×6, first 2 shown]
	v_add_f64_e32 v[92:93], v[0:1], v[24:25]
	v_add_f64_e64 v[75:76], v[42:43], -v[6:7]
	s_mov_b32 s24, 0x6ed5f1bb
	s_mov_b32 s34, 0x923c349f
	;; [unrolled: 1-line block ×12, first 2 shown]
	v_add_f64_e32 v[128:129], v[4:5], v[40:41]
	v_add_f64_e64 v[108:109], v[46:47], -v[14:15]
	s_mov_b32 s38, 0xc61f0d01
	s_mov_b32 s40, 0x2b2883cd
	;; [unrolled: 1-line block ×10, first 2 shown]
	v_add_f64_e32 v[152:153], v[12:13], v[44:45]
	v_add_f64_e64 v[106:107], v[50:51], -v[18:19]
	s_mov_b32 s42, 0x3259b75e
	s_mov_b32 s36, 0x2a9d6da3
	;; [unrolled: 1-line block ×3, first 2 shown]
	s_wait_alu 0xfffe
	v_mul_f64_e32 v[132:133], s[2:3], v[71:72]
	v_mul_f64_e32 v[136:137], s[6:7], v[71:72]
	;; [unrolled: 1-line block ×3, first 2 shown]
	s_mov_b32 s31, 0x3fe9895b
	s_mov_b32 s37, 0x3fe58eea
	s_mov_b32 s30, s2
	v_add_f64_e32 v[124:125], v[16:17], v[48:49]
	v_add_f64_e64 v[104:105], v[54:55], -v[22:23]
	v_mul_f64_e32 v[122:123], s[34:35], v[75:76]
	v_mul_f64_e32 v[130:131], s[16:17], v[75:76]
	;; [unrolled: 1-line block ×3, first 2 shown]
	s_mov_b32 s48, 0x75d4884
	s_mov_b32 s49, 0x3fe7a5f6
	s_mov_b32 s45, 0x3fefdd0d
	s_mov_b32 s44, s26
	v_add_f64_e32 v[154:155], v[20:21], v[52:53]
	v_add_f64_e64 v[94:95], v[66:67], -v[30:31]
	s_mov_b32 s47, 0xbfe58eea
	s_mov_b32 s46, s36
	v_add_f64_e32 v[140:141], v[28:29], v[64:65]
	s_mov_b32 s51, 0xbfeec746
	s_mov_b32 s50, s34
	v_mul_f64_e32 v[142:143], s[18:19], v[108:109]
	v_mul_f64_e32 v[146:147], s[26:27], v[108:109]
	;; [unrolled: 1-line block ×3, first 2 shown]
	v_add_f64_e32 v[116:117], v[36:37], v[60:61]
	v_mul_hi_u32 v83, 0xcccccccd, v68
	v_cmp_gt_u32_e64 s1, 33, v159
	v_mul_f64_e32 v[138:139], s[6:7], v[106:107]
	v_mul_f64_e32 v[144:145], s[30:31], v[106:107]
	;; [unrolled: 1-line block ×3, first 2 shown]
	v_lshrrev_b32_e32 v83, 2, v83
	v_fma_f64 v[69:70], v[92:93], s[24:25], -v[132:133]
	v_fma_f64 v[73:74], v[92:93], s[22:23], -v[136:137]
	;; [unrolled: 1-line block ×3, first 2 shown]
	s_delay_alu instid0(VALU_DEP_4)
	v_lshl_add_u32 v83, v83, 2, v83
	v_mul_f64_e32 v[118:119], s[44:45], v[104:105]
	v_fma_f64 v[79:80], v[128:129], s[38:39], -v[122:123]
	v_fma_f64 v[81:82], v[128:129], s[40:41], -v[130:131]
	;; [unrolled: 1-line block ×3, first 2 shown]
	v_mul_f64_e32 v[120:121], s[18:19], v[104:105]
	v_mul_f64_e32 v[126:127], s[2:3], v[104:105]
	v_sub_nc_u32_e32 v68, v68, v83
	v_mul_f64_e32 v[110:111], s[46:47], v[94:95]
	v_mul_f64_e32 v[112:113], s[12:13], v[94:95]
	;; [unrolled: 1-line block ×3, first 2 shown]
	s_delay_alu instid0(VALU_DEP_4)
	v_mul_u32_u24_e32 v68, 0x231, v68
	v_fma_f64 v[88:89], v[152:153], s[28:29], -v[142:143]
	v_fma_f64 v[90:91], v[152:153], s[42:43], -v[146:147]
	v_fma_f64 v[96:97], v[152:153], s[22:23], -v[156:157]
	v_add_f64_e32 v[69:70], v[8:9], v[69:70]
	v_add_f64_e32 v[73:74], v[8:9], v[73:74]
	v_add_f64_e32 v[77:78], v[8:9], v[77:78]
	v_fma_f64 v[102:103], v[154:155], s[28:29], -v[120:121]
	v_fma_f64 v[160:161], v[154:155], s[24:25], -v[126:127]
	v_fma_f64 v[162:163], v[140:141], s[40:41], -v[114:115]
	v_add_f64_e32 v[69:70], v[79:80], v[69:70]
	v_add_f64_e32 v[73:74], v[81:82], v[73:74]
	v_add_f64_e32 v[77:78], v[86:87], v[77:78]
	;; [unrolled: 6-line block ×3, first 2 shown]
	v_add_f64_e64 v[73:74], v[62:63], -v[38:39]
	v_fma_f64 v[90:91], v[154:155], s[42:43], -v[118:119]
	v_add_f64_e32 v[79:80], v[79:80], v[69:70]
	v_add_f64_e32 v[81:82], v[81:82], v[88:89]
	;; [unrolled: 1-line block ×3, first 2 shown]
	v_add_f64_e64 v[69:70], v[58:59], -v[34:35]
	v_mul_f64_e32 v[96:97], s[12:13], v[73:74]
	v_mul_f64_e32 v[98:99], s[36:37], v[73:74]
	;; [unrolled: 1-line block ×3, first 2 shown]
	v_fma_f64 v[86:87], v[140:141], s[48:49], -v[110:111]
	v_fma_f64 v[88:89], v[140:141], s[20:21], -v[112:113]
	v_add_f64_e32 v[90:91], v[90:91], v[79:80]
	v_add_f64_e32 v[164:165], v[102:103], v[81:82]
	;; [unrolled: 1-line block ×4, first 2 shown]
	v_mul_f64_e32 v[77:78], s[16:17], v[69:70]
	v_mul_f64_e32 v[79:80], s[50:51], v[69:70]
	;; [unrolled: 1-line block ×3, first 2 shown]
	v_fma_f64 v[166:167], v[116:117], s[20:21], -v[96:97]
	v_fma_f64 v[168:169], v[116:117], s[48:49], -v[98:99]
	;; [unrolled: 1-line block ×3, first 2 shown]
	v_add_f64_e32 v[86:87], v[86:87], v[90:91]
	v_add_f64_e32 v[88:89], v[88:89], v[164:165]
	;; [unrolled: 1-line block ×3, first 2 shown]
	v_fma_f64 v[160:161], v[102:103], s[40:41], -v[77:78]
	v_fma_f64 v[162:163], v[102:103], s[38:39], -v[79:80]
	;; [unrolled: 1-line block ×3, first 2 shown]
	v_add_f64_e32 v[86:87], v[166:167], v[86:87]
	v_add_f64_e32 v[166:167], v[168:169], v[88:89]
	;; [unrolled: 1-line block ×3, first 2 shown]
	s_delay_alu instid0(VALU_DEP_3) | instskip(NEXT) | instid1(VALU_DEP_3)
	v_add_f64_e32 v[88:89], v[160:161], v[86:87]
	v_add_f64_e32 v[90:91], v[162:163], v[166:167]
	s_delay_alu instid0(VALU_DEP_3)
	v_add_f64_e32 v[86:87], v[164:165], v[168:169]
	v_lshlrev_b32_e32 v160, 3, v68
	s_and_saveexec_b32 s0, s1
	s_cbranch_execz .LBB0_14
; %bb.13:
	v_add_f64_e32 v[161:162], v[24:25], v[8:9]
	v_mul_f64_e32 v[163:164], s[20:21], v[92:93]
	v_mul_f64_e32 v[165:166], s[22:23], v[92:93]
	;; [unrolled: 1-line block ×14, first 2 shown]
	s_mov_b32 s57, 0xbfeca52d
	s_mov_b32 s56, s16
	;; [unrolled: 1-line block ×6, first 2 shown]
	v_mul_f64_e32 v[191:192], s[42:43], v[152:153]
	v_mul_f64_e32 v[203:204], s[48:49], v[152:153]
	v_mul_f64_e32 v[205:206], s[38:39], v[152:153]
	v_mul_f64_e32 v[207:208], s[20:21], v[152:153]
	v_mul_f64_e32 v[209:210], s[24:25], v[152:153]
	v_mul_f64_e32 v[187:188], s[24:25], v[124:125]
	v_add_f64_e32 v[161:162], v[40:41], v[161:162]
	v_add_f64_e32 v[148:149], v[148:149], v[163:164]
	v_mul_f64_e32 v[163:164], s[38:39], v[128:129]
	v_add_f64_e32 v[136:137], v[136:137], v[165:166]
	v_mul_f64_e32 v[165:166], s[22:23], v[128:129]
	v_add_f64_e32 v[132:133], v[132:133], v[167:168]
	v_fma_f64 v[183:184], v[71:72], s[34:35], v[169:170]
	v_mul_f64_e32 v[128:129], s[48:49], v[128:129]
	v_fma_f64 v[169:170], v[71:72], s[50:51], v[169:170]
	v_fma_f64 v[195:196], v[71:72], s[26:27], v[171:172]
	;; [unrolled: 1-line block ×9, first 2 shown]
	v_mul_f64_e32 v[92:93], s[28:29], v[152:153]
	v_mul_f64_e32 v[152:153], s[40:41], v[152:153]
	v_add_f64_e32 v[156:157], v[156:157], v[177:178]
	v_add_f64_e32 v[134:135], v[134:135], v[179:180]
	v_add_f64_e32 v[130:131], v[130:131], v[181:182]
	v_fma_f64 v[179:180], v[75:76], s[52:53], v[185:186]
	v_fma_f64 v[181:182], v[75:76], s[12:13], v[185:186]
	;; [unrolled: 1-line block ×3, first 2 shown]
	v_mul_f64_e32 v[167:168], s[48:49], v[124:125]
	v_add_f64_e32 v[144:145], v[144:145], v[187:188]
	v_add_f64_e32 v[161:162], v[44:45], v[161:162]
	v_add_f64_e32 v[148:149], v[8:9], v[148:149]
	v_add_f64_e32 v[122:123], v[122:123], v[163:164]
	v_add_f64_e32 v[136:137], v[8:9], v[136:137]
	v_fma_f64 v[163:164], v[75:76], s[6:7], v[165:166]
	v_add_f64_e32 v[132:133], v[8:9], v[132:133]
	v_fma_f64 v[165:166], v[75:76], s[54:55], v[165:166]
	v_add_f64_e32 v[177:178], v[8:9], v[183:184]
	v_fma_f64 v[183:184], v[75:76], s[30:31], v[189:190]
	v_fma_f64 v[189:190], v[75:76], s[44:45], v[193:194]
	;; [unrolled: 1-line block ×5, first 2 shown]
	v_add_f64_e32 v[128:129], v[8:9], v[169:170]
	v_add_f64_e32 v[169:170], v[8:9], v[195:196]
	;; [unrolled: 1-line block ×11, first 2 shown]
	v_fma_f64 v[142:143], v[108:109], s[46:47], v[203:204]
	v_fma_f64 v[146:147], v[108:109], s[36:37], v[203:204]
	;; [unrolled: 1-line block ×10, first 2 shown]
	v_mul_f64_e32 v[152:153], s[22:23], v[124:125]
	v_add_f64_e32 v[150:151], v[150:151], v[167:168]
	v_add_f64_e32 v[161:162], v[48:49], v[161:162]
	;; [unrolled: 1-line block ×3, first 2 shown]
	v_mul_f64_e32 v[148:149], s[40:41], v[124:125]
	v_add_f64_e32 v[130:131], v[130:131], v[136:137]
	v_mul_f64_e32 v[136:137], s[28:29], v[124:125]
	v_add_f64_e32 v[122:123], v[122:123], v[132:133]
	;; [unrolled: 2-line block ×3, first 2 shown]
	v_mul_f64_e32 v[177:178], s[20:21], v[124:125]
	v_mul_f64_e32 v[124:125], s[42:43], v[124:125]
	v_add_f64_e32 v[128:129], v[165:166], v[128:129]
	v_add_f64_e32 v[165:166], v[181:182], v[169:170]
	;; [unrolled: 1-line block ×9, first 2 shown]
	v_mul_f64_e32 v[181:182], s[24:25], v[154:155]
	v_mul_f64_e32 v[183:184], s[28:29], v[154:155]
	;; [unrolled: 1-line block ×8, first 2 shown]
	v_add_f64_e32 v[138:139], v[138:139], v[152:153]
	v_add_f64_e32 v[161:162], v[52:53], v[161:162]
	v_fma_f64 v[152:153], v[106:107], s[16:17], v[148:149]
	v_fma_f64 v[148:149], v[106:107], s[56:57], v[148:149]
	;; [unrolled: 1-line block ×4, first 2 shown]
	v_add_f64_e32 v[71:72], v[71:72], v[130:131]
	v_add_f64_e32 v[92:93], v[92:93], v[122:123]
	;; [unrolled: 1-line block ×3, first 2 shown]
	v_fma_f64 v[187:188], v[106:107], s[50:51], v[132:133]
	v_fma_f64 v[132:133], v[106:107], s[34:35], v[132:133]
	;; [unrolled: 1-line block ×4, first 2 shown]
	v_add_f64_e32 v[128:129], v[146:147], v[128:129]
	v_add_f64_e32 v[130:131], v[201:202], v[165:166]
	v_fma_f64 v[211:212], v[106:107], s[44:45], v[124:125]
	v_fma_f64 v[106:107], v[106:107], s[26:27], v[124:125]
	v_add_f64_e32 v[124:125], v[156:157], v[134:135]
	v_add_f64_e32 v[134:135], v[191:192], v[169:170]
	;; [unrolled: 1-line block ×8, first 2 shown]
	v_mul_f64_e32 v[165:166], s[20:21], v[140:141]
	v_mul_f64_e32 v[169:170], s[48:49], v[140:141]
	;; [unrolled: 1-line block ×4, first 2 shown]
	v_add_f64_e32 v[126:127], v[126:127], v[181:182]
	v_add_f64_e32 v[120:121], v[120:121], v[183:184]
	;; [unrolled: 1-line block ×3, first 2 shown]
	v_fma_f64 v[181:182], v[104:105], s[52:53], v[189:190]
	v_fma_f64 v[183:184], v[104:105], s[12:13], v[189:190]
	;; [unrolled: 1-line block ×3, first 2 shown]
	v_mul_f64_e32 v[163:164], s[40:41], v[140:141]
	v_fma_f64 v[185:186], v[104:105], s[16:17], v[193:194]
	v_mul_f64_e32 v[175:176], s[28:29], v[140:141]
	v_add_f64_e32 v[161:162], v[64:65], v[161:162]
	v_mul_f64_e32 v[179:180], s[38:39], v[140:141]
	v_fma_f64 v[191:192], v[104:105], s[46:47], v[195:196]
	v_fma_f64 v[193:194], v[104:105], s[36:37], v[195:196]
	;; [unrolled: 1-line block ×3, first 2 shown]
	v_mul_f64_e32 v[140:141], s[24:25], v[140:141]
	v_add_f64_e32 v[71:72], v[144:145], v[71:72]
	v_add_f64_e32 v[92:93], v[138:139], v[92:93]
	;; [unrolled: 1-line block ×3, first 2 shown]
	v_fma_f64 v[197:198], v[104:105], s[54:55], v[197:198]
	v_fma_f64 v[201:202], v[104:105], s[34:35], v[154:155]
	;; [unrolled: 1-line block ×3, first 2 shown]
	v_mul_f64_e32 v[144:145], s[48:49], v[116:117]
	v_add_f64_e32 v[128:129], v[148:149], v[128:129]
	v_add_f64_e32 v[130:131], v[136:137], v[130:131]
	v_mul_f64_e32 v[148:149], s[28:29], v[116:117]
	v_mul_f64_e32 v[152:153], s[42:43], v[116:117]
	v_add_f64_e32 v[124:125], v[150:151], v[124:125]
	v_add_f64_e32 v[134:135], v[167:168], v[134:135]
	;; [unrolled: 1-line block ×8, first 2 shown]
	v_mul_f64_e32 v[142:143], s[38:39], v[116:117]
	v_mul_f64_e32 v[146:147], s[20:21], v[116:117]
	;; [unrolled: 1-line block ×5, first 2 shown]
	v_add_f64_e32 v[112:113], v[112:113], v[165:166]
	v_add_f64_e32 v[110:111], v[110:111], v[169:170]
	v_fma_f64 v[156:157], v[94:95], s[26:27], v[171:172]
	v_fma_f64 v[165:166], v[94:95], s[6:7], v[173:174]
	v_mul_f64_e32 v[177:178], s[22:23], v[102:103]
	v_add_f64_e32 v[114:115], v[114:115], v[163:164]
	v_fma_f64 v[163:164], v[94:95], s[54:55], v[173:174]
	v_fma_f64 v[167:168], v[94:95], s[14:15], v[175:176]
	v_add_f64_e32 v[161:162], v[60:61], v[161:162]
	v_fma_f64 v[169:170], v[94:95], s[18:19], v[175:176]
	v_fma_f64 v[173:174], v[94:95], s[34:35], v[179:180]
	;; [unrolled: 1-line block ×3, first 2 shown]
	v_add_f64_e32 v[71:72], v[120:121], v[71:72]
	v_add_f64_e32 v[92:93], v[118:119], v[92:93]
	;; [unrolled: 1-line block ×6, first 2 shown]
	v_fma_f64 v[144:145], v[73:74], s[18:19], v[148:149]
	v_add_f64_e32 v[124:125], v[126:127], v[124:125]
	v_add_f64_e32 v[126:127], v[185:186], v[134:135]
	;; [unrolled: 1-line block ×8, first 2 shown]
	v_mul_f64_e32 v[134:135], s[42:43], v[102:103]
	v_mul_f64_e32 v[136:137], s[38:39], v[102:103]
	;; [unrolled: 1-line block ×3, first 2 shown]
	v_add_f64_e32 v[100:101], v[100:101], v[142:143]
	v_add_f64_e32 v[96:97], v[96:97], v[146:147]
	v_fma_f64 v[142:143], v[73:74], s[14:15], v[148:149]
	v_fma_f64 v[146:147], v[73:74], s[2:3], v[150:151]
	;; [unrolled: 1-line block ×8, first 2 shown]
	v_add_f64_e32 v[161:162], v[56:57], v[161:162]
	v_fma_f64 v[73:74], v[73:74], s[6:7], v[116:117]
	v_add_f64_e32 v[71:72], v[112:113], v[71:72]
	v_add_f64_e32 v[92:93], v[110:111], v[92:93]
	;; [unrolled: 1-line block ×7, first 2 shown]
	v_fma_f64 v[130:131], v[69:70], s[54:55], v[177:178]
	v_add_f64_e32 v[8:9], v[175:176], v[8:9]
	v_add_f64_e32 v[81:82], v[81:82], v[134:135]
	;; [unrolled: 1-line block ×12, first 2 shown]
	s_delay_alu instid0(VALU_DEP_2) | instskip(NEXT) | instid1(VALU_DEP_1)
	v_add_f64_e32 v[161:162], v[28:29], v[161:162]
	v_add_f64_e32 v[108:109], v[20:21], v[161:162]
	v_fma_f64 v[161:162], v[94:95], s[44:45], v[171:172]
	v_fma_f64 v[171:172], v[94:95], s[50:51], v[179:180]
	;; [unrolled: 1-line block ×3, first 2 shown]
	v_mul_f64_e32 v[140:141], s[48:49], v[102:103]
	v_mul_f64_e32 v[179:180], s[28:29], v[102:103]
	v_add_f64_e32 v[106:107], v[16:17], v[108:109]
	v_mul_f64_e32 v[108:109], s[40:41], v[102:103]
	v_mul_f64_e32 v[102:103], s[20:21], v[102:103]
	v_add_f64_e32 v[112:113], v[161:162], v[120:121]
	v_add_f64_e32 v[120:121], v[167:168], v[128:129]
	;; [unrolled: 1-line block ×5, first 2 shown]
	v_fma_f64 v[126:127], v[69:70], s[46:47], v[140:141]
	v_fma_f64 v[128:129], v[69:70], s[36:37], v[140:141]
	;; [unrolled: 1-line block ×5, first 2 shown]
	v_add_f64_e32 v[104:105], v[12:13], v[106:107]
	v_add_f64_e32 v[77:78], v[77:78], v[108:109]
	v_fma_f64 v[106:107], v[69:70], s[30:31], v[138:139]
	v_fma_f64 v[108:109], v[69:70], s[2:3], v[138:139]
	;; [unrolled: 1-line block ×4, first 2 shown]
	v_add_f64_e32 v[70:71], v[98:99], v[71:72]
	v_add_f64_e32 v[98:99], v[144:145], v[112:113]
	;; [unrolled: 1-line block ×20, first 2 shown]
	v_mul_u32_u24_e32 v80, 0x88, v159
	s_delay_alu instid0(VALU_DEP_1)
	v_add3_u32 v80, 0, v80, v160
	v_add_f64_e32 v[74:75], v[0:1], v[94:95]
	ds_store_2addr_b64 v80, v[96:97], v[92:93] offset0:4 offset1:5
	ds_store_2addr_b64 v80, v[76:77], v[70:71] offset0:6 offset1:7
	;; [unrolled: 1-line block ×7, first 2 shown]
	ds_store_2addr_b64 v80, v[74:75], v[68:69] offset1:1
	ds_store_b64 v80, v[8:9] offset:128
.LBB0_14:
	s_wait_alu 0xfffe
	s_or_b32 exec_lo, exec_lo, s0
	v_lshlrev_b32_e32 v8, 3, v159
	global_wb scope:SCOPE_SE
	s_wait_dscnt 0x0
	s_barrier_signal -1
	s_barrier_wait -1
	global_inv scope:SCOPE_SE
	v_add_nc_u32_e32 v150, 0, v8
	v_add3_u32 v148, 0, v160, v8
	v_cmp_gt_u32_e64 s0, 34, v159
	s_delay_alu instid0(VALU_DEP_3) | instskip(NEXT) | instid1(VALU_DEP_1)
	v_add_nc_u32_e32 v149, v150, v160
	v_add_nc_u32_e32 v8, 0x800, v149
	ds_load_b64 v[92:93], v148
	ds_load_2addr_b64 v[72:75], v149 offset0:187 offset1:238
	ds_load_2addr_b64 v[68:71], v149 offset0:51 offset1:102
	;; [unrolled: 1-line block ×4, first 2 shown]
	s_and_saveexec_b32 s2, s0
	s_cbranch_execz .LBB0_16
; %bb.15:
	v_add_nc_u32_e32 v8, 0x400, v149
	ds_load_2addr_b64 v[94:97], v8 offset0:25 offset1:212
	ds_load_b64 v[88:89], v149 offset:4216
	s_wait_dscnt 0x1
	v_mov_b32_e32 v90, v96
	v_dual_mov_b32 v86, v94 :: v_dual_mov_b32 v87, v95
	v_mov_b32_e32 v91, v97
.LBB0_16:
	s_wait_alu 0xfffe
	s_or_b32 exec_lo, exec_lo, s2
	v_add_f64_e64 v[136:137], v[24:25], -v[0:1]
	s_mov_b32 s2, 0x6c9a05f6
	s_mov_b32 s16, 0x4363dd80
	;; [unrolled: 1-line block ×6, first 2 shown]
	v_add_f64_e32 v[120:121], v[2:3], v[26:27]
	v_add_f64_e64 v[146:147], v[40:41], -v[4:5]
	s_mov_b32 s6, 0x6ed5f1bb
	s_mov_b32 s12, 0x910ea3b9
	;; [unrolled: 1-line block ×12, first 2 shown]
	v_add_f64_e32 v[116:117], v[6:7], v[42:43]
	v_add_f64_e64 v[144:145], v[44:45], -v[12:13]
	s_mov_b32 s30, 0xc61f0d01
	s_mov_b32 s22, 0x2b2883cd
	s_mov_b32 s18, 0x370991
	s_mov_b32 s40, 0xeb564b22
	s_mov_b32 s31, 0xbfd183b1
	s_mov_b32 s23, 0x3fdc86fa
	s_mov_b32 s19, 0x3fedd6d0
	s_mov_b32 s39, 0xbfd71e95
	s_mov_b32 s41, 0xbfefdd0d
	s_wait_alu 0xfffe
	s_mov_b32 s38, s24
	v_add_f64_e32 v[108:109], v[14:15], v[46:47]
	v_add_f64_e64 v[128:129], v[48:49], -v[16:17]
	s_mov_b32 s26, 0x3259b75e
	s_mov_b32 s27, 0x3fb79ee6
	;; [unrolled: 1-line block ×3, first 2 shown]
	v_mul_f64_e32 v[138:139], s[2:3], v[136:137]
	v_mul_f64_e32 v[140:141], s[16:17], v[136:137]
	v_mul_f64_e32 v[142:143], s[20:21], v[136:137]
	s_mov_b32 s44, s2
	v_add_f64_e32 v[104:105], v[18:19], v[50:51]
	v_add_f64_e64 v[118:119], v[52:53], -v[20:21]
	s_mov_b32 s28, 0x75d4884
	s_mov_b32 s29, 0x3fe7a5f6
	v_mul_f64_e32 v[130:131], s[42:43], v[146:147]
	v_mul_f64_e32 v[132:133], s[34:35], v[146:147]
	;; [unrolled: 1-line block ×3, first 2 shown]
	s_mov_b32 s47, 0x3fefdd0d
	s_mov_b32 s46, s40
	v_add_f64_e32 v[96:97], v[22:23], v[54:55]
	v_add_f64_e64 v[106:107], v[64:65], -v[28:29]
	s_mov_b32 s53, 0xbfe58eea
	s_mov_b32 s52, s36
	v_add_f64_e32 v[48:49], v[30:31], v[66:67]
	v_add_f64_e64 v[94:95], v[60:61], -v[36:37]
	s_mov_b32 s49, 0xbfeec746
	s_mov_b32 s48, s42
	v_add_f64_e32 v[28:29], v[38:39], v[62:63]
	s_wait_alu 0xfffe
	v_mul_f64_e32 v[122:123], s[38:39], v[144:145]
	v_mul_f64_e32 v[124:125], s[40:41], v[144:145]
	v_mul_f64_e32 v[126:127], s[16:17], v[144:145]
	global_wb scope:SCOPE_SE
	s_wait_dscnt 0x0
	s_barrier_signal -1
	s_barrier_wait -1
	global_inv scope:SCOPE_SE
	v_mul_f64_e32 v[110:111], s[16:17], v[128:129]
	v_mul_f64_e32 v[112:113], s[44:45], v[128:129]
	;; [unrolled: 1-line block ×3, first 2 shown]
	v_fma_f64 v[0:1], v[120:121], s[6:7], v[138:139]
	v_fma_f64 v[4:5], v[120:121], s[12:13], v[140:141]
	;; [unrolled: 1-line block ×3, first 2 shown]
	v_mul_f64_e32 v[98:99], s[46:47], v[118:119]
	v_mul_f64_e32 v[100:101], s[38:39], v[118:119]
	;; [unrolled: 1-line block ×3, first 2 shown]
	v_fma_f64 v[12:13], v[116:117], s[30:31], v[130:131]
	v_fma_f64 v[16:17], v[116:117], s[22:23], v[132:133]
	;; [unrolled: 1-line block ×3, first 2 shown]
	v_mul_f64_e32 v[52:53], s[52:53], v[106:107]
	v_mul_f64_e32 v[60:61], s[20:21], v[106:107]
	;; [unrolled: 1-line block ×4, first 2 shown]
	v_fma_f64 v[20:21], v[108:109], s[18:19], v[122:123]
	v_fma_f64 v[40:41], v[108:109], s[26:27], v[124:125]
	v_fma_f64 v[44:45], v[108:109], s[12:13], v[126:127]
	v_add_f64_e32 v[0:1], v[10:11], v[0:1]
	v_add_f64_e32 v[4:5], v[10:11], v[4:5]
	v_add_f64_e32 v[8:9], v[10:11], v[8:9]
	v_fma_f64 v[151:152], v[96:97], s[18:19], v[100:101]
	v_fma_f64 v[153:154], v[96:97], s[6:7], v[102:103]
	v_fma_f64 v[161:162], v[28:29], s[28:29], v[36:37]
	v_add_f64_e32 v[0:1], v[12:13], v[0:1]
	v_add_f64_e32 v[4:5], v[16:17], v[4:5]
	v_add_f64_e32 v[8:9], v[24:25], v[8:9]
	;; [unrolled: 6-line block ×3, first 2 shown]
	v_fma_f64 v[20:21], v[96:97], s[26:27], v[98:99]
	v_add_f64_e64 v[44:45], v[56:57], -v[32:33]
	v_mul_f64_e32 v[32:33], s[20:21], v[94:95]
	v_mul_f64_e32 v[40:41], s[48:49], v[94:95]
	v_fma_f64 v[56:57], v[48:49], s[22:23], v[64:65]
	v_add_f64_e32 v[0:1], v[12:13], v[0:1]
	v_add_f64_e32 v[4:5], v[16:17], v[4:5]
	;; [unrolled: 1-line block ×3, first 2 shown]
	v_fma_f64 v[16:17], v[48:49], s[28:29], v[52:53]
	v_fma_f64 v[24:25], v[48:49], s[14:15], v[60:61]
	v_add_f64_e32 v[12:13], v[34:35], v[58:59]
	v_fma_f64 v[155:156], v[28:29], s[14:15], v[32:33]
	v_fma_f64 v[163:164], v[28:29], s[30:31], v[40:41]
	v_add_f64_e32 v[20:21], v[20:21], v[0:1]
	v_add_f64_e32 v[151:152], v[151:152], v[4:5]
	v_add_f64_e32 v[153:154], v[153:154], v[8:9]
	v_mul_f64_e32 v[8:9], s[34:35], v[44:45]
	v_mul_f64_e32 v[4:5], s[48:49], v[44:45]
	;; [unrolled: 1-line block ×3, first 2 shown]
	v_add_f64_e32 v[16:17], v[16:17], v[20:21]
	v_add_f64_e32 v[20:21], v[24:25], v[151:152]
	;; [unrolled: 1-line block ×3, first 2 shown]
	v_fma_f64 v[56:57], v[12:13], s[22:23], v[8:9]
	v_fma_f64 v[151:152], v[12:13], s[30:31], v[4:5]
	;; [unrolled: 1-line block ×3, first 2 shown]
	v_add_f64_e32 v[16:17], v[155:156], v[16:17]
	v_add_f64_e32 v[20:21], v[161:162], v[20:21]
	;; [unrolled: 1-line block ×3, first 2 shown]
	s_delay_alu instid0(VALU_DEP_3) | instskip(NEXT) | instid1(VALU_DEP_3)
	v_add_f64_e32 v[16:17], v[56:57], v[16:17]
	v_add_f64_e32 v[24:25], v[151:152], v[20:21]
	s_delay_alu instid0(VALU_DEP_3)
	v_add_f64_e32 v[20:21], v[153:154], v[155:156]
	s_and_saveexec_b32 s33, s1
	s_cbranch_execz .LBB0_18
; %bb.17:
	v_add_f64_e32 v[26:27], v[26:27], v[10:11]
	v_mul_f64_e32 v[56:57], s[48:49], v[136:137]
	v_mul_f64_e32 v[151:152], s[14:15], v[120:121]
	s_mov_b32 s51, 0xbfeca52d
	s_mov_b32 s50, s34
	v_mul_f64_e32 v[153:154], s[40:41], v[146:147]
	v_mul_f64_e32 v[155:156], s[2:3], v[146:147]
	;; [unrolled: 1-line block ×6, first 2 shown]
	s_mov_b32 s55, 0x3fc7851a
	s_mov_b32 s54, s20
	v_mul_f64_e32 v[177:178], s[42:43], v[144:145]
	v_mul_f64_e32 v[179:180], s[36:37], v[144:145]
	s_wait_alu 0xfffe
	v_mul_f64_e32 v[181:182], s[50:51], v[144:145]
	v_mul_f64_e32 v[191:192], s[42:43], v[128:129]
	v_mul_f64_e32 v[193:194], s[24:25], v[128:129]
	v_add_f64_e32 v[26:27], v[42:43], v[26:27]
	v_mul_f64_e32 v[42:43], s[38:39], v[136:137]
	v_fma_f64 v[175:176], v[120:121], s[30:31], -v[56:57]
	v_fma_f64 v[56:57], v[120:121], s[30:31], v[56:57]
	v_fma_f64 v[185:186], v[116:117], s[26:27], -v[153:154]
	v_fma_f64 v[153:154], v[116:117], s[26:27], v[153:154]
	;; [unrolled: 2-line block ×4, first 2 shown]
	v_add_f64_e64 v[130:131], v[161:162], -v[130:131]
	v_add_f64_e64 v[132:133], v[165:166], -v[132:133]
	;; [unrolled: 1-line block ×3, first 2 shown]
	v_fma_f64 v[197:198], v[108:109], s[30:31], -v[177:178]
	v_fma_f64 v[177:178], v[108:109], s[30:31], v[177:178]
	v_fma_f64 v[199:200], v[108:109], s[28:29], -v[179:180]
	v_fma_f64 v[179:180], v[108:109], s[28:29], v[179:180]
	v_add_f64_e32 v[26:27], v[46:47], v[26:27]
	v_mul_f64_e32 v[46:47], s[52:53], v[136:137]
	v_fma_f64 v[169:170], v[120:121], s[18:19], -v[42:43]
	v_fma_f64 v[42:43], v[120:121], s[18:19], v[42:43]
	v_add_f64_e32 v[56:57], v[10:11], v[56:57]
	v_add_f64_e32 v[26:27], v[50:51], v[26:27]
	v_mul_f64_e32 v[50:51], s[6:7], v[120:121]
	v_fma_f64 v[171:172], v[120:121], s[28:29], -v[46:47]
	v_fma_f64 v[46:47], v[120:121], s[28:29], v[46:47]
	s_delay_alu instid0(VALU_DEP_4)
	v_add_f64_e32 v[26:27], v[54:55], v[26:27]
	v_mul_f64_e32 v[54:55], s[40:41], v[136:137]
	v_mul_f64_e32 v[136:137], s[50:51], v[136:137]
	v_add_f64_e64 v[50:51], v[50:51], -v[138:139]
	v_add_f64_e64 v[138:139], v[151:152], -v[142:143]
	v_mul_f64_e32 v[142:143], s[12:13], v[108:109]
	v_mul_f64_e32 v[151:152], s[2:3], v[144:145]
	;; [unrolled: 1-line block ×3, first 2 shown]
	v_add_f64_e32 v[165:166], v[10:11], v[171:172]
	v_add_f64_e32 v[46:47], v[10:11], v[46:47]
	v_mul_f64_e32 v[171:172], s[28:29], v[104:105]
	v_add_f64_e32 v[26:27], v[66:67], v[26:27]
	v_mul_f64_e32 v[66:67], s[12:13], v[120:121]
	v_fma_f64 v[173:174], v[120:121], s[26:27], -v[54:55]
	v_fma_f64 v[54:55], v[120:121], s[26:27], v[54:55]
	v_add_f64_e32 v[50:51], v[10:11], v[50:51]
	v_add_f64_e32 v[138:139], v[10:11], v[138:139]
	v_fma_f64 v[195:196], v[108:109], s[6:7], -v[151:152]
	v_fma_f64 v[151:152], v[108:109], s[6:7], v[151:152]
	v_add_f64_e32 v[46:47], v[153:154], v[46:47]
	v_add_f64_e32 v[26:27], v[62:63], v[26:27]
	v_mul_f64_e32 v[62:63], s[52:53], v[146:147]
	s_mov_b32 s53, 0x3fe0d888
	s_mov_b32 s52, s16
	v_add_f64_e64 v[66:67], v[66:67], -v[140:141]
	s_wait_alu 0xfffe
	v_mul_f64_e32 v[146:147], s[52:53], v[146:147]
	v_fma_f64 v[140:141], v[120:121], s[22:23], v[136:137]
	v_add_f64_e32 v[167:168], v[10:11], v[173:174]
	v_add_f64_e32 v[54:55], v[10:11], v[54:55]
	v_mul_f64_e32 v[173:174], s[40:41], v[128:129]
	v_add_f64_e32 v[50:51], v[130:131], v[50:51]
	v_add_f64_e32 v[130:131], v[134:135], v[138:139]
	v_mul_f64_e32 v[134:135], s[48:49], v[118:119]
	v_mul_f64_e32 v[138:139], s[36:37], v[118:119]
	v_add_f64_e32 v[46:47], v[151:152], v[46:47]
	v_add_f64_e32 v[26:27], v[58:59], v[26:27]
	v_fma_f64 v[58:59], v[120:121], s[22:23], -v[136:137]
	v_mul_f64_e32 v[120:121], s[18:19], v[108:109]
	v_mul_f64_e32 v[136:137], s[26:27], v[108:109]
	v_fma_f64 v[183:184], v[116:117], s[28:29], -v[62:63]
	v_fma_f64 v[62:63], v[116:117], s[28:29], v[62:63]
	v_fma_f64 v[161:162], v[116:117], s[12:13], -v[146:147]
	v_fma_f64 v[116:117], v[116:117], s[12:13], v[146:147]
	v_add_f64_e32 v[146:147], v[10:11], v[169:170]
	v_add_f64_e32 v[169:170], v[10:11], v[175:176]
	;; [unrolled: 1-line block ×4, first 2 shown]
	v_mul_f64_e32 v[175:176], s[20:21], v[128:129]
	v_mul_f64_e32 v[128:129], s[50:51], v[128:129]
	v_add_f64_e32 v[153:154], v[189:190], v[167:168]
	v_add_f64_e32 v[54:55], v[163:164], v[54:55]
	v_fma_f64 v[163:164], v[104:105], s[26:27], -v[173:174]
	v_fma_f64 v[151:152], v[96:97], s[28:29], -v[138:139]
	v_fma_f64 v[138:139], v[96:97], s[28:29], v[138:139]
	v_add_f64_e32 v[26:27], v[34:35], v[26:27]
	v_add_f64_e32 v[34:35], v[10:11], v[58:59]
	;; [unrolled: 1-line block ×3, first 2 shown]
	v_mul_f64_e32 v[42:43], s[12:13], v[104:105]
	v_mul_f64_e32 v[58:59], s[6:7], v[104:105]
	v_add_f64_e64 v[120:121], v[120:121], -v[122:123]
	v_add_f64_e64 v[122:123], v[136:137], -v[124:125]
	;; [unrolled: 1-line block ×3, first 2 shown]
	v_fma_f64 v[126:127], v[108:109], s[22:23], -v[181:182]
	v_fma_f64 v[136:137], v[108:109], s[22:23], v[181:182]
	v_fma_f64 v[142:143], v[108:109], s[14:15], -v[144:145]
	v_fma_f64 v[108:109], v[108:109], s[14:15], v[144:145]
	v_add_f64_e32 v[144:145], v[183:184], v[146:147]
	v_add_f64_e32 v[146:147], v[185:186], v[165:166]
	v_add_f64_e32 v[161:162], v[161:162], v[169:170]
	v_add_f64_e32 v[66:67], v[132:133], v[66:67]
	v_add_f64_e32 v[56:57], v[116:117], v[56:57]
	v_add_f64_e32 v[116:117], v[155:156], v[140:141]
	v_mul_f64_e32 v[132:133], s[6:7], v[96:97]
	v_mul_f64_e32 v[140:141], s[20:21], v[118:119]
	;; [unrolled: 1-line block ×4, first 2 shown]
	v_fma_f64 v[165:166], v[104:105], s[26:27], v[173:174]
	v_fma_f64 v[167:168], v[104:105], s[14:15], -v[175:176]
	v_fma_f64 v[169:170], v[104:105], s[14:15], v[175:176]
	v_fma_f64 v[173:174], v[104:105], s[30:31], -v[191:192]
	;; [unrolled: 2-line block ×3, first 2 shown]
	v_fma_f64 v[183:184], v[104:105], s[18:19], v[193:194]
	v_add_f64_e32 v[54:55], v[177:178], v[54:55]
	v_add_f64_e32 v[26:27], v[38:39], v[26:27]
	v_add_f64_e32 v[34:35], v[187:188], v[34:35]
	v_add_f64_e32 v[10:11], v[62:63], v[10:11]
	v_mul_f64_e32 v[38:39], s[26:27], v[96:97]
	v_mul_f64_e32 v[62:63], s[18:19], v[96:97]
	v_add_f64_e64 v[42:43], v[42:43], -v[110:111]
	v_add_f64_e64 v[58:59], v[58:59], -v[112:113]
	;; [unrolled: 1-line block ×3, first 2 shown]
	v_fma_f64 v[112:113], v[104:105], s[22:23], -v[128:129]
	v_fma_f64 v[104:105], v[104:105], s[22:23], v[128:129]
	v_add_f64_e32 v[128:129], v[197:198], v[153:154]
	v_add_f64_e32 v[50:51], v[120:121], v[50:51]
	;; [unrolled: 1-line block ×9, first 2 shown]
	v_mul_f64_e32 v[116:117], s[14:15], v[48:49]
	v_mul_f64_e32 v[122:123], s[22:23], v[48:49]
	;; [unrolled: 1-line block ×4, first 2 shown]
	v_fma_f64 v[146:147], v[96:97], s[30:31], -v[134:135]
	v_fma_f64 v[134:135], v[96:97], s[30:31], v[134:135]
	v_fma_f64 v[153:154], v[96:97], s[14:15], -v[140:141]
	v_fma_f64 v[140:141], v[96:97], s[14:15], v[140:141]
	v_add_f64_e32 v[46:47], v[169:170], v[46:47]
	v_add_f64_e32 v[54:55], v[183:184], v[54:55]
	;; [unrolled: 1-line block ×5, first 2 shown]
	v_mul_f64_e32 v[34:35], s[28:29], v[48:49]
	v_mul_f64_e32 v[136:137], s[38:39], v[106:107]
	;; [unrolled: 1-line block ×4, first 2 shown]
	v_add_f64_e64 v[38:39], v[38:39], -v[98:99]
	v_add_f64_e64 v[62:63], v[62:63], -v[100:101]
	;; [unrolled: 1-line block ×3, first 2 shown]
	v_fma_f64 v[100:101], v[96:97], s[12:13], -v[155:156]
	v_fma_f64 v[102:103], v[96:97], s[12:13], v[155:156]
	v_fma_f64 v[132:133], v[96:97], s[22:23], -v[118:119]
	v_fma_f64 v[96:97], v[96:97], s[22:23], v[118:119]
	v_add_f64_e32 v[114:115], v[163:164], v[114:115]
	v_add_f64_e32 v[118:119], v[167:168], v[126:127]
	;; [unrolled: 1-line block ×9, first 2 shown]
	v_mul_f64_e32 v[104:105], s[28:29], v[28:29]
	v_mul_f64_e32 v[108:109], s[30:31], v[28:29]
	;; [unrolled: 1-line block ×7, first 2 shown]
	v_fma_f64 v[155:156], v[48:49], s[6:7], -v[124:125]
	v_fma_f64 v[124:125], v[48:49], s[6:7], v[124:125]
	v_fma_f64 v[161:162], v[48:49], s[30:31], -v[130:131]
	v_fma_f64 v[130:131], v[48:49], s[30:31], v[130:131]
	v_add_f64_e32 v[22:23], v[22:23], v[26:27]
	v_add_f64_e32 v[26:27], v[173:174], v[30:31]
	;; [unrolled: 1-line block ×3, first 2 shown]
	v_mul_f64_e32 v[30:31], s[14:15], v[28:29]
	v_fma_f64 v[163:164], v[48:49], s[18:19], -v[136:137]
	v_fma_f64 v[136:137], v[48:49], s[18:19], v[136:137]
	v_fma_f64 v[165:166], v[48:49], s[12:13], -v[142:143]
	v_fma_f64 v[142:143], v[48:49], s[12:13], v[142:143]
	;; [unrolled: 2-line block ×3, first 2 shown]
	v_add_f64_e64 v[34:35], v[34:35], -v[52:53]
	v_add_f64_e64 v[52:53], v[116:117], -v[60:61]
	;; [unrolled: 1-line block ×3, first 2 shown]
	v_add_f64_e32 v[46:47], v[102:103], v[46:47]
	v_add_f64_e32 v[64:65], v[146:147], v[114:115]
	;; [unrolled: 1-line block ×11, first 2 shown]
	v_mul_f64_e32 v[62:63], s[30:31], v[12:13]
	v_mul_f64_e32 v[96:97], s[20:21], v[44:45]
	;; [unrolled: 1-line block ×6, first 2 shown]
	v_fma_f64 v[116:117], v[28:29], s[12:13], -v[110:111]
	v_fma_f64 v[110:111], v[28:29], s[12:13], v[110:111]
	v_fma_f64 v[118:119], v[28:29], s[22:23], -v[120:121]
	v_fma_f64 v[120:121], v[28:29], s[22:23], v[120:121]
	;; [unrolled: 2-line block ×4, first 2 shown]
	v_add_f64_e32 v[18:19], v[18:19], v[22:23]
	v_add_f64_e32 v[22:23], v[151:152], v[26:27]
	;; [unrolled: 1-line block ×3, first 2 shown]
	v_mul_f64_e32 v[26:27], s[22:23], v[12:13]
	v_fma_f64 v[134:135], v[28:29], s[18:19], -v[94:95]
	v_fma_f64 v[28:29], v[28:29], s[18:19], v[94:95]
	v_add_f64_e64 v[30:31], v[30:31], -v[32:33]
	v_add_f64_e64 v[32:33], v[104:105], -v[36:37]
	;; [unrolled: 1-line block ×3, first 2 shown]
	v_mul_f64_e32 v[66:67], s[26:27], v[12:13]
	v_add_f64_e32 v[46:47], v[130:131], v[46:47]
	v_add_f64_e32 v[40:41], v[155:156], v[64:65]
	;; [unrolled: 1-line block ×11, first 2 shown]
	v_add_f64_e64 v[4:5], v[62:63], -v[4:5]
	v_fma_f64 v[54:55], v[12:13], s[14:15], v[96:97]
	v_fma_f64 v[56:57], v[12:13], s[18:19], -v[98:99]
	v_fma_f64 v[58:59], v[12:13], s[18:19], v[98:99]
	v_fma_f64 v[60:61], v[12:13], s[12:13], -v[112:113]
	v_fma_f64 v[98:99], v[12:13], s[28:29], -v[114:115]
	v_fma_f64 v[102:103], v[12:13], s[28:29], v[114:115]
	v_fma_f64 v[104:105], v[12:13], s[6:7], -v[44:45]
	v_add_f64_e32 v[14:15], v[14:15], v[18:19]
	v_add_f64_e32 v[18:19], v[163:164], v[22:23]
	;; [unrolled: 1-line block ×3, first 2 shown]
	v_fma_f64 v[22:23], v[12:13], s[14:15], -v[96:97]
	v_fma_f64 v[96:97], v[12:13], s[12:13], v[112:113]
	v_fma_f64 v[12:13], v[12:13], s[6:7], v[44:45]
	v_add_f64_e64 v[8:9], v[26:27], -v[8:9]
	v_add_f64_e64 v[0:1], v[66:67], -v[0:1]
	v_add_f64_e32 v[44:45], v[120:121], v[46:47]
	v_add_f64_e32 v[26:27], v[116:117], v[40:41]
	;; [unrolled: 1-line block ×28, first 2 shown]
	v_lshlrev_b32_e32 v14, 7, v159
	s_delay_alu instid0(VALU_DEP_1)
	v_add3_u32 v14, v150, v14, v160
	ds_store_2addr_b64 v14, v[40:41], v[42:43] offset0:4 offset1:5
	ds_store_2addr_b64 v14, v[8:9], v[4:5] offset0:6 offset1:7
	;; [unrolled: 1-line block ×6, first 2 shown]
	ds_store_2addr_b64 v14, v[2:3], v[18:19] offset1:1
	ds_store_2addr_b64 v14, v[22:23], v[6:7] offset0:2 offset1:3
	ds_store_b64 v14, v[10:11] offset:128
.LBB0_18:
	s_or_b32 exec_lo, exec_lo, s33
	v_add_nc_u32_e32 v4, 0x800, v149
	global_wb scope:SCOPE_SE
	s_wait_dscnt 0x0
	s_barrier_signal -1
	s_barrier_wait -1
	global_inv scope:SCOPE_SE
	ds_load_b64 v[18:19], v148
	ds_load_2addr_b64 v[12:15], v149 offset0:187 offset1:238
	ds_load_2addr_b64 v[8:11], v4 offset0:33 offset1:118
	;; [unrolled: 1-line block ×4, first 2 shown]
	s_and_saveexec_b32 s1, s0
	s_cbranch_execz .LBB0_20
; %bb.19:
	v_add_nc_u32_e32 v16, 0x400, v149
	ds_load_2addr_b64 v[20:23], v16 offset0:25 offset1:212
	ds_load_b64 v[16:17], v149 offset:4216
	s_wait_dscnt 0x1
	v_dual_mov_b32 v25, v23 :: v_dual_mov_b32 v24, v22
.LBB0_20:
	s_wait_alu 0xfffe
	s_or_b32 exec_lo, exec_lo, s1
	v_add_nc_u16 v22, v159, 51
	v_add_nc_u16 v23, v159, 0x66
	v_and_b32_e32 v26, 0xff, v159
	s_mov_b32 s2, 0xe8584caa
	s_mov_b32 s3, 0xbfebb67a
	v_and_b32_e32 v27, 0xff, v22
	v_and_b32_e32 v28, 0xff, v23
	v_mul_lo_u16 v26, 0xf1, v26
	s_mov_b32 s7, 0x3febb67a
	s_wait_alu 0xfffe
	s_mov_b32 s6, s2
	v_mul_lo_u16 v27, 0xf1, v27
	v_mul_lo_u16 v28, 0xf1, v28
	v_lshrrev_b16 v98, 12, v26
	s_delay_alu instid0(VALU_DEP_3) | instskip(NEXT) | instid1(VALU_DEP_3)
	v_lshrrev_b16 v99, 12, v27
	v_lshrrev_b16 v100, 12, v28
	s_delay_alu instid0(VALU_DEP_3) | instskip(NEXT) | instid1(VALU_DEP_3)
	v_mul_lo_u16 v26, v98, 17
	v_mul_lo_u16 v27, v99, 17
	s_delay_alu instid0(VALU_DEP_3) | instskip(NEXT) | instid1(VALU_DEP_3)
	v_mul_lo_u16 v28, v100, 17
	v_sub_nc_u16 v26, v159, v26
	s_delay_alu instid0(VALU_DEP_3) | instskip(NEXT) | instid1(VALU_DEP_3)
	v_sub_nc_u16 v22, v22, v27
	v_sub_nc_u16 v23, v23, v28
	s_delay_alu instid0(VALU_DEP_3) | instskip(NEXT) | instid1(VALU_DEP_3)
	v_and_b32_e32 v101, 0xff, v26
	v_and_b32_e32 v102, 0xff, v22
	s_delay_alu instid0(VALU_DEP_3) | instskip(NEXT) | instid1(VALU_DEP_3)
	v_and_b32_e32 v103, 0xff, v23
	v_lshlrev_b32_e32 v22, 5, v101
	s_delay_alu instid0(VALU_DEP_3) | instskip(NEXT) | instid1(VALU_DEP_3)
	v_lshlrev_b32_e32 v23, 5, v102
	v_lshlrev_b32_e32 v26, 5, v103
	s_clause 0x5
	global_load_b128 v[36:39], v22, s[4:5]
	global_load_b128 v[40:43], v22, s[4:5] offset:16
	global_load_b128 v[44:47], v23, s[4:5]
	global_load_b128 v[48:51], v23, s[4:5] offset:16
	;; [unrolled: 2-line block ×3, first 2 shown]
	v_add_nc_u16 v22, v159, 0x99
	s_delay_alu instid0(VALU_DEP_1) | instskip(NEXT) | instid1(VALU_DEP_1)
	v_and_b32_e32 v23, 0xff, v22
	v_mul_lo_u16 v23, 0xf1, v23
	s_delay_alu instid0(VALU_DEP_1) | instskip(NEXT) | instid1(VALU_DEP_1)
	v_lshrrev_b16 v104, 12, v23
	v_mul_lo_u16 v23, v104, 17
	s_delay_alu instid0(VALU_DEP_1) | instskip(NEXT) | instid1(VALU_DEP_1)
	v_sub_nc_u16 v22, v22, v23
	v_and_b32_e32 v105, 0xff, v22
	s_delay_alu instid0(VALU_DEP_1)
	v_lshlrev_b32_e32 v22, 5, v105
	s_clause 0x1
	global_load_b128 v[60:63], v22, s[4:5]
	global_load_b128 v[64:67], v22, s[4:5] offset:16
	global_wb scope:SCOPE_SE
	s_wait_loadcnt_dscnt 0x0
	s_barrier_signal -1
	s_barrier_wait -1
	global_inv scope:SCOPE_SE
	v_mul_f64_e32 v[22:23], v[12:13], v[38:39]
	v_mul_f64_e32 v[26:27], v[10:11], v[42:43]
	;; [unrolled: 1-line block ×12, first 2 shown]
	v_fma_f64 v[32:33], v[72:73], v[36:37], v[22:23]
	v_fma_f64 v[34:35], v[78:79], v[40:41], v[26:27]
	;; [unrolled: 1-line block ×6, first 2 shown]
	v_fma_f64 v[12:13], v[12:13], v[36:37], -v[38:39]
	v_fma_f64 v[10:11], v[10:11], v[40:41], -v[42:43]
	v_fma_f64 v[14:15], v[14:15], v[44:45], -v[46:47]
	v_fma_f64 v[4:5], v[4:5], v[48:49], -v[50:51]
	v_fma_f64 v[8:9], v[8:9], v[52:53], -v[54:55]
	v_fma_f64 v[6:7], v[6:7], v[56:57], -v[58:59]
	v_mul_f64_e32 v[42:43], v[24:25], v[62:63]
	v_mul_f64_e32 v[44:45], v[90:91], v[62:63]
	;; [unrolled: 1-line block ×4, first 2 shown]
	v_add_f64_e32 v[48:49], v[92:93], v[32:33]
	v_add_f64_e32 v[36:37], v[32:33], v[34:35]
	v_add_f64_e32 v[52:53], v[68:69], v[26:27]
	v_add_f64_e32 v[38:39], v[26:27], v[30:31]
	v_add_f64_e32 v[54:55], v[70:71], v[22:23]
	v_add_f64_e32 v[40:41], v[22:23], v[28:29]
	v_add_f64_e64 v[50:51], v[12:13], -v[10:11]
	v_add_f64_e64 v[58:59], v[14:15], -v[4:5]
	v_fma_f64 v[24:25], v[24:25], v[60:61], -v[44:45]
	v_lshlrev_b32_e32 v44, 3, v101
	v_fma_f64 v[56:57], v[36:37], -0.5, v[92:93]
	v_fma_f64 v[36:37], v[90:91], v[60:61], v[42:43]
	v_fma_f64 v[62:63], v[38:39], -0.5, v[68:69]
	v_add_f64_e64 v[68:69], v[8:9], -v[6:7]
	v_fma_f64 v[40:41], v[40:41], -0.5, v[70:71]
	v_fma_f64 v[38:39], v[88:89], v[64:65], v[46:47]
	v_add_f64_e32 v[47:48], v[48:49], v[34:35]
	v_add_f64_e32 v[52:53], v[52:53], v[30:31]
	;; [unrolled: 1-line block ×3, first 2 shown]
	v_and_b32_e32 v43, 0xffff, v100
	v_and_b32_e32 v42, 0xffff, v104
	s_delay_alu instid0(VALU_DEP_2)
	v_mad_u32_u24 v46, 0x198, v43, 0
	v_lshlrev_b32_e32 v43, 3, v105
	v_fma_f64 v[60:61], v[50:51], s[2:3], v[56:57]
	s_wait_alu 0xfffe
	v_fma_f64 v[49:50], v[50:51], s[6:7], v[56:57]
	v_fma_f64 v[56:57], v[58:59], s[2:3], v[62:63]
	;; [unrolled: 1-line block ×5, first 2 shown]
	v_fma_f64 v[40:41], v[16:17], v[64:65], -v[66:67]
	v_and_b32_e32 v16, 0xffff, v98
	v_and_b32_e32 v17, 0xffff, v99
	v_lshlrev_b32_e32 v51, 3, v103
	s_delay_alu instid0(VALU_DEP_3) | instskip(NEXT) | instid1(VALU_DEP_3)
	v_mad_u32_u24 v16, 0x198, v16, 0
	v_mad_u32_u24 v17, 0x198, v17, 0
	s_delay_alu instid0(VALU_DEP_3) | instskip(NEXT) | instid1(VALU_DEP_3)
	v_add3_u32 v46, v46, v51, v160
	v_add3_u32 v44, v16, v44, v160
	v_lshlrev_b32_e32 v16, 3, v102
	s_delay_alu instid0(VALU_DEP_1)
	v_add3_u32 v45, v17, v16, v160
	ds_store_2addr_b64 v44, v[47:48], v[60:61] offset1:17
	ds_store_b64 v44, v[49:50] offset:272
	ds_store_2addr_b64 v45, v[52:53], v[56:57] offset1:17
	ds_store_b64 v45, v[58:59] offset:272
	;; [unrolled: 2-line block ×3, first 2 shown]
	s_and_saveexec_b32 s1, s0
	s_cbranch_execz .LBB0_22
; %bb.21:
	v_add_f64_e32 v[16:17], v[36:37], v[38:39]
	v_add_f64_e64 v[47:48], v[24:25], -v[40:41]
	v_add_f64_e32 v[49:50], v[86:87], v[36:37]
	s_delay_alu instid0(VALU_DEP_3) | instskip(NEXT) | instid1(VALU_DEP_2)
	v_fma_f64 v[16:17], v[16:17], -0.5, v[86:87]
	v_add_f64_e32 v[49:50], v[49:50], v[38:39]
	s_delay_alu instid0(VALU_DEP_2) | instskip(SKIP_2) | instid1(VALU_DEP_1)
	v_fma_f64 v[51:52], v[47:48], s[2:3], v[16:17]
	v_fma_f64 v[16:17], v[47:48], s[6:7], v[16:17]
	v_mad_u32_u24 v47, 0x198, v42, 0
	v_add3_u32 v47, v47, v43, v160
	ds_store_2addr_b64 v47, v[49:50], v[51:52] offset1:17
	ds_store_b64 v47, v[16:17] offset:272
.LBB0_22:
	s_wait_alu 0xfffe
	s_or_b32 exec_lo, exec_lo, s1
	v_add_f64_e32 v[16:17], v[12:13], v[10:11]
	v_add_f64_e32 v[47:48], v[14:15], v[4:5]
	;; [unrolled: 1-line block ×4, first 2 shown]
	v_add_f64_e64 v[32:33], v[32:33], -v[34:35]
	v_add_f64_e32 v[14:15], v[0:1], v[14:15]
	v_add_f64_e32 v[8:9], v[2:3], v[8:9]
	v_add_f64_e64 v[22:23], v[22:23], -v[28:29]
	global_wb scope:SCOPE_SE
	s_wait_dscnt 0x0
	s_barrier_signal -1
	s_barrier_wait -1
	global_inv scope:SCOPE_SE
	v_fma_f64 v[16:17], v[16:17], -0.5, v[18:19]
	v_add_f64_e64 v[18:19], v[26:27], -v[30:31]
	v_fma_f64 v[0:1], v[47:48], -0.5, v[0:1]
	v_fma_f64 v[2:3], v[49:50], -0.5, v[2:3]
	v_add_f64_e32 v[26:27], v[12:13], v[10:11]
	v_add_f64_e32 v[28:29], v[14:15], v[4:5]
	;; [unrolled: 1-line block ×3, first 2 shown]
	v_fma_f64 v[34:35], v[32:33], s[6:7], v[16:17]
	v_fma_f64 v[32:33], v[32:33], s[2:3], v[16:17]
	;; [unrolled: 1-line block ×6, first 2 shown]
	v_add_nc_u32_e32 v0, 0x400, v149
	v_add_nc_u32_e32 v1, 0x800, v149
	ds_load_b64 v[68:69], v148
	ds_load_2addr_b64 v[12:15], v149 offset0:51 offset1:102
	ds_load_2addr_b64 v[4:7], v149 offset0:153 offset1:204
	;; [unrolled: 1-line block ×5, first 2 shown]
	global_wb scope:SCOPE_SE
	s_wait_dscnt 0x0
	s_barrier_signal -1
	s_barrier_wait -1
	global_inv scope:SCOPE_SE
	ds_store_2addr_b64 v44, v[26:27], v[34:35] offset1:17
	ds_store_b64 v44, v[32:33] offset:272
	ds_store_2addr_b64 v45, v[28:29], v[47:48] offset1:17
	ds_store_b64 v45, v[49:50] offset:272
	;; [unrolled: 2-line block ×3, first 2 shown]
	s_and_saveexec_b32 s1, s0
	s_cbranch_execz .LBB0_24
; %bb.23:
	v_add_f64_e32 v[22:23], v[24:25], v[40:41]
	v_add_f64_e64 v[26:27], v[36:37], -v[38:39]
	s_mov_b32 s3, 0x3febb67a
	s_mov_b32 s2, 0xe8584caa
	s_delay_alu instid0(VALU_DEP_2) | instskip(SKIP_2) | instid1(VALU_DEP_2)
	v_fma_f64 v[22:23], v[22:23], -0.5, v[20:21]
	v_add_f64_e32 v[20:21], v[20:21], v[24:25]
	s_wait_alu 0xfffe
	v_fma_f64 v[24:25], v[26:27], s[2:3], v[22:23]
	s_mov_b32 s3, 0xbfebb67a
	s_delay_alu instid0(VALU_DEP_2) | instskip(SKIP_3) | instid1(VALU_DEP_1)
	v_add_f64_e32 v[20:21], v[20:21], v[40:41]
	s_wait_alu 0xfffe
	v_fma_f64 v[22:23], v[26:27], s[2:3], v[22:23]
	v_mad_u32_u24 v26, 0x198, v42, 0
	v_add3_u32 v26, v26, v43, v160
	ds_store_2addr_b64 v26, v[20:21], v[24:25] offset1:17
	ds_store_b64 v26, v[22:23] offset:272
.LBB0_24:
	s_wait_alu 0xfffe
	s_or_b32 exec_lo, exec_lo, s1
	global_wb scope:SCOPE_SE
	s_wait_dscnt 0x0
	s_barrier_signal -1
	s_barrier_wait -1
	global_inv scope:SCOPE_SE
	s_and_saveexec_b32 s0, vcc_lo
	s_cbranch_execz .LBB0_26
; %bb.25:
	v_mul_u32_u24_e32 v20, 10, v159
	v_add_nc_u32_e32 v131, 0x132, v158
	v_lshlrev_b64_e32 v[88:89], 4, v[84:85]
	v_mad_co_u64_u32 v[86:87], null, s8, v158, 0
	s_delay_alu instid0(VALU_DEP_4) | instskip(NEXT) | instid1(VALU_DEP_4)
	v_lshlrev_b32_e32 v52, 4, v20
	v_mad_co_u64_u32 v[100:101], null, s8, v131, 0
	v_add_nc_u32_e32 v129, 0xcc, v158
	v_add_co_u32 v212, vcc_lo, s10, v88
	s_clause 0x9
	global_load_b128 v[48:51], v52, s[4:5] offset:544
	global_load_b128 v[44:47], v52, s[4:5] offset:608
	;; [unrolled: 1-line block ×10, first 2 shown]
	ds_load_2addr_b64 v[64:67], v149 offset0:51 offset1:102
	v_add_nc_u32_e32 v73, 0x800, v149
	ds_load_b64 v[70:71], v148
	ds_load_2addr_b64 v[60:63], v149 offset0:153 offset1:204
	v_add_nc_u32_e32 v133, 0x198, v158
	s_wait_alu 0xfffd
	v_add_co_ci_u32_e32 v213, vcc_lo, s11, v89, vcc_lo
	v_add_nc_u32_e32 v134, 0x1cb, v158
	v_add_nc_u32_e32 v135, 0x1fe, v158
	v_mad_co_u64_u32 v[104:105], null, s8, v133, 0
	v_add_nc_u32_e32 v132, 0x165, v158
	s_delay_alu instid0(VALU_DEP_4) | instskip(SKIP_2) | instid1(VALU_DEP_2)
	v_mad_co_u64_u32 v[106:107], null, s8, v134, 0
	s_mov_b32 s21, 0x3fed1bb4
	s_mov_b32 s20, 0x8eee2c13
	v_mad_co_u64_u32 v[102:103], null, s8, v132, 0
	v_add_nc_u32_e32 v130, 0xff, v158
	s_mov_b32 s14, 0xbb3a28a1
	s_mov_b32 s16, 0xfd768dbf
	;; [unrolled: 1-line block ×10, first 2 shown]
	s_wait_alu 0xfffe
	s_mov_b32 s26, s22
	s_mov_b32 s24, s18
	s_mov_b32 s29, 0x3fd207e7
	s_mov_b32 s28, s16
	s_mov_b32 s0, 0x7f775887
	s_mov_b32 s12, 0x9bcd5057
	s_mov_b32 s6, 0x640f44db
	s_mov_b32 s2, 0xd9c712b6
	s_mov_b32 s1, 0xbfe4f49e
	s_mov_b32 s4, 0x8764f0ba
	s_mov_b32 s13, 0xbfeeb42a
	s_mov_b32 s7, 0xbfc2375f
	s_mov_b32 s3, 0x3fda9628
	s_mov_b32 s5, 0x3feaeb8c
	s_wait_loadcnt 0x9
	v_mul_f64_e32 v[90:91], v[12:13], v[50:51]
	v_mul_f64_e32 v[12:13], v[12:13], v[48:49]
	s_wait_loadcnt 0x7
	v_mul_f64_e32 v[110:111], v[18:19], v[40:41]
	v_mul_f64_e32 v[18:19], v[18:19], v[42:43]
	s_wait_loadcnt 0x5
	v_mul_f64_e32 v[114:115], v[8:9], v[28:29]
	v_mul_f64_e32 v[8:9], v[8:9], v[30:31]
	v_mul_f64_e32 v[108:109], v[16:17], v[44:45]
	s_wait_loadcnt 0x2
	v_mul_f64_e32 v[120:121], v[14:15], v[32:33]
	v_mul_f64_e32 v[14:15], v[14:15], v[34:35]
	;; [unrolled: 1-line block ×9, first 2 shown]
	s_wait_loadcnt 0x0
	v_mul_f64_e32 v[124:125], v[2:3], v[52:53]
	v_mul_f64_e32 v[2:3], v[2:3], v[54:55]
	;; [unrolled: 1-line block ×4, first 2 shown]
	s_wait_dscnt 0x2
	v_fma_f64 v[48:49], v[64:65], v[48:49], -v[90:91]
	v_mov_b32_e32 v91, v103
	v_fma_f64 v[12:13], v[64:65], v[50:51], v[12:13]
	v_mov_b32_e32 v90, v101
	v_mad_co_u64_u32 v[96:97], null, s8, v129, 0
	v_dual_mov_b32 v64, v87 :: v_dual_add_nc_u32 v127, 0x66, v158
	v_fma_f64 v[34:35], v[66:67], v[34:35], v[120:121]
	v_fma_f64 v[14:15], v[66:67], v[32:33], -v[14:15]
	v_mad_co_u64_u32 v[98:99], null, s8, v130, 0
	v_mov_b32_e32 v88, v97
	v_mad_co_u64_u32 v[92:93], null, s8, v127, 0
	v_add_nc_u32_e32 v72, 0x400, v149
	ds_load_2addr_b64 v[74:77], v72 offset0:127 offset1:178
	ds_load_2addr_b64 v[78:81], v73 offset0:101 offset1:152
	;; [unrolled: 1-line block ×3, first 2 shown]
	v_dual_mov_b32 v89, v99 :: v_dual_add_nc_u32 v128, 0x99, v158
	s_wait_dscnt 0x3
	v_fma_f64 v[38:39], v[62:63], v[38:39], v[112:113]
	v_fma_f64 v[6:7], v[62:63], v[36:37], -v[6:7]
	v_fma_f64 v[26:27], v[60:61], v[26:27], v[116:117]
	v_fma_f64 v[4:5], v[60:61], v[24:25], -v[4:5]
	v_mad_co_u64_u32 v[94:95], null, s8, v128, 0
	v_add_nc_u32_e32 v126, 51, v158
	v_mad_co_u64_u32 v[64:65], null, s9, v158, v[64:65]
	v_mad_co_u64_u32 v[50:51], null, s8, v135, 0
	s_delay_alu instid0(VALU_DEP_4) | instskip(NEXT) | instid1(VALU_DEP_4)
	v_mov_b32_e32 v87, v95
	v_mad_co_u64_u32 v[72:73], null, s8, v126, 0
	s_wait_dscnt 0x2
	v_fma_f64 v[18:19], v[76:77], v[40:41], -v[18:19]
	v_add_f64_e32 v[40:41], v[70:71], v[48:49]
	s_wait_dscnt 0x1
	v_fma_f64 v[8:9], v[78:79], v[28:29], -v[8:9]
	v_add_f64_e32 v[28:29], v[68:69], v[12:13]
	v_fma_f64 v[46:47], v[74:75], v[46:47], v[108:109]
	v_fma_f64 v[42:43], v[76:77], v[42:43], v[110:111]
	v_fma_f64 v[16:17], v[74:75], v[44:45], -v[16:17]
	v_fma_f64 v[30:31], v[78:79], v[30:31], v[114:115]
	v_fma_f64 v[22:23], v[80:81], v[22:23], v[118:119]
	v_fma_f64 v[10:11], v[80:81], v[20:21], -v[10:11]
	s_wait_dscnt 0x0
	v_fma_f64 v[32:33], v[84:85], v[54:55], v[124:125]
	v_fma_f64 v[24:25], v[84:85], v[52:53], -v[2:3]
	v_fma_f64 v[36:37], v[82:83], v[58:59], v[122:123]
	v_mov_b32_e32 v65, v73
	v_mad_co_u64_u32 v[52:53], null, s9, v129, v[88:89]
	v_mad_co_u64_u32 v[53:54], null, s9, v130, v[89:90]
	v_mov_b32_e32 v73, v93
	v_mad_co_u64_u32 v[54:55], null, s9, v131, v[90:91]
	v_mov_b32_e32 v93, v105
	v_fma_f64 v[0:1], v[82:83], v[56:57], -v[0:1]
	v_mad_co_u64_u32 v[2:3], null, s9, v126, v[65:66]
	v_mad_co_u64_u32 v[55:56], null, s9, v132, v[91:92]
	;; [unrolled: 1-line block ×4, first 2 shown]
	v_mov_b32_e32 v95, v107
	v_mov_b32_e32 v87, v64
	;; [unrolled: 1-line block ×5, first 2 shown]
	v_mad_co_u64_u32 v[56:57], null, s9, v133, v[93:94]
	v_mad_co_u64_u32 v[57:58], null, s9, v134, v[95:96]
	v_add_f64_e32 v[40:41], v[14:15], v[40:41]
	v_add_f64_e32 v[28:29], v[34:35], v[28:29]
	v_mad_co_u64_u32 v[58:59], null, s9, v135, v[51:52]
	v_mov_b32_e32 v93, v20
	v_mov_b32_e32 v95, v44
	v_add_f64_e64 v[2:3], v[46:47], -v[42:43]
	v_add_f64_e64 v[20:21], v[38:39], -v[30:31]
	v_add_f64_e64 v[44:45], v[26:27], -v[22:23]
	v_add_f64_e64 v[65:66], v[16:17], -v[18:19]
	v_add_f64_e64 v[74:75], v[6:7], -v[8:9]
	v_add_f64_e64 v[76:77], v[4:5], -v[10:11]
	v_lshlrev_b64_e32 v[59:60], 4, v[86:87]
	v_add_f64_e64 v[63:64], v[12:13], -v[32:33]
	v_add_f64_e64 v[80:81], v[48:49], -v[24:25]
	v_mov_b32_e32 v99, v53
	v_lshlrev_b64_e32 v[52:53], 4, v[72:73]
	v_lshlrev_b64_e32 v[72:73], 4, v[96:97]
	;; [unrolled: 1-line block ×3, first 2 shown]
	v_add_f64_e32 v[96:97], v[4:5], v[10:11]
	v_add_f64_e32 v[102:103], v[26:27], v[22:23]
	v_add_f64_e64 v[61:62], v[34:35], -v[36:37]
	v_mov_b32_e32 v107, v57
	v_add_f64_e64 v[78:79], v[14:15], -v[0:1]
	v_add_f64_e32 v[48:49], v[48:49], v[24:25]
	v_add_f64_e32 v[12:13], v[12:13], v[32:33]
	;; [unrolled: 1-line block ×3, first 2 shown]
	v_lshlrev_b64_e32 v[90:91], 4, v[106:107]
	v_mov_b32_e32 v105, v56
	v_lshlrev_b64_e32 v[56:57], 4, v[94:95]
	v_add_f64_e32 v[94:95], v[6:7], v[8:9]
	v_mov_b32_e32 v101, v54
	v_add_f64_e32 v[34:35], v[34:35], v[36:37]
	v_lshlrev_b64_e32 v[54:55], 4, v[92:93]
	v_lshlrev_b64_e32 v[82:83], 4, v[98:99]
	v_add_f64_e32 v[92:93], v[16:17], v[18:19]
	v_lshlrev_b64_e32 v[84:85], 4, v[100:101]
	v_add_f64_e32 v[100:101], v[38:39], v[30:31]
	v_add_f64_e32 v[4:5], v[4:5], v[40:41]
	;; [unrolled: 1-line block ×4, first 2 shown]
	v_lshlrev_b64_e32 v[88:89], 4, v[104:105]
	v_mov_b32_e32 v51, v58
	v_add_co_u32 v58, vcc_lo, v212, v59
	v_mul_f64_e32 v[106:107], s[20:21], v[20:21]
	v_mul_f64_e32 v[120:121], s[20:21], v[2:3]
	;; [unrolled: 1-line block ×6, first 2 shown]
	s_mov_b32 s21, 0xbfed1bb4
	v_mul_f64_e32 v[112:113], s[16:17], v[63:64]
	v_mul_f64_e32 v[118:119], s[16:17], v[80:81]
	;; [unrolled: 1-line block ×3, first 2 shown]
	s_wait_alu 0xfffe
	v_mul_f64_e32 v[124:125], s[26:27], v[44:45]
	v_mul_f64_e32 v[134:135], s[26:27], v[76:77]
	;; [unrolled: 1-line block ×21, first 2 shown]
	v_add_f64_e32 v[4:5], v[6:7], v[4:5]
	v_add_f64_e32 v[26:27], v[38:39], v[26:27]
	v_mul_f64_e32 v[6:7], s[18:19], v[44:45]
	v_mul_f64_e32 v[44:45], s[20:21], v[80:81]
	v_mul_f64_e32 v[38:39], s[18:19], v[76:77]
	v_mul_f64_e32 v[76:77], s[20:21], v[78:79]
	v_mul_f64_e32 v[122:123], s[16:17], v[20:21]
	v_mul_f64_e32 v[142:143], s[26:27], v[20:21]
	v_mul_f64_e32 v[164:165], s[24:25], v[20:21]
	v_mul_f64_e32 v[20:21], s[14:15], v[20:21]
	v_mul_f64_e32 v[132:133], s[16:17], v[74:75]
	v_mul_f64_e32 v[152:153], s[26:27], v[74:75]
	v_mul_f64_e32 v[104:105], s[18:19], v[2:3]
	v_mul_f64_e32 v[140:141], s[14:15], v[2:3]
	v_fma_f64 v[178:179], v[48:49], s[12:13], v[112:113]
	v_fma_f64 v[184:185], v[12:13], s[12:13], -v[118:119]
	v_fma_f64 v[112:113], v[48:49], s[12:13], -v[112:113]
	v_fma_f64 v[190:191], v[48:49], s[0:1], v[128:129]
	v_fma_f64 v[186:187], v[96:97], s[4:5], v[124:125]
	v_fma_f64 v[192:193], v[102:103], s[4:5], -v[134:135]
	v_fma_f64 v[196:197], v[12:13], s[0:1], -v[138:139]
	v_fma_f64 v[188:189], v[14:15], s[6:7], v[126:127]
	v_fma_f64 v[128:129], v[48:49], s[0:1], -v[128:129]
	v_fma_f64 v[198:199], v[48:49], s[6:7], v[148:149]
	;; [unrolled: 2-line block ×4, first 2 shown]
	v_fma_f64 v[48:49], v[48:49], s[2:3], -v[63:64]
	v_fma_f64 v[63:64], v[96:97], s[4:5], -v[124:125]
	;; [unrolled: 1-line block ×3, first 2 shown]
	v_fma_f64 v[126:127], v[102:103], s[4:5], v[134:135]
	v_fma_f64 v[134:135], v[12:13], s[0:1], v[138:139]
	v_fma_f64 v[138:139], v[12:13], s[4:5], v[176:177]
	v_fma_f64 v[118:119], v[12:13], s[12:13], v[118:119]
	v_fma_f64 v[206:207], v[12:13], s[6:7], v[158:159]
	v_fma_f64 v[158:159], v[12:13], s[6:7], -v[158:159]
	v_fma_f64 v[176:177], v[12:13], s[4:5], -v[176:177]
	v_add_f64_e32 v[4:5], v[16:17], v[4:5]
	v_add_f64_e32 v[26:27], v[46:47], v[26:27]
	v_fma_f64 v[80:81], v[14:15], s[4:5], v[110:111]
	v_fma_f64 v[204:205], v[12:13], s[2:3], v[44:45]
	v_fma_f64 v[12:13], v[12:13], s[2:3], -v[44:45]
	v_fma_f64 v[182:183], v[34:35], s[4:5], -v[116:117]
	;; [unrolled: 1-line block ×3, first 2 shown]
	v_fma_f64 v[116:117], v[34:35], s[4:5], v[116:117]
	v_fma_f64 v[194:195], v[34:35], s[6:7], -v[136:137]
	v_fma_f64 v[136:137], v[34:35], s[6:7], v[136:137]
	v_fma_f64 v[16:17], v[14:15], s[12:13], v[146:147]
	v_fma_f64 v[46:47], v[34:35], s[12:13], -v[156:157]
	v_fma_f64 v[146:147], v[14:15], s[12:13], -v[146:147]
	v_fma_f64 v[156:157], v[34:35], s[12:13], v[156:157]
	v_add_f64_e32 v[178:179], v[70:71], v[178:179]
	v_add_f64_e32 v[184:185], v[68:69], v[184:185]
	;; [unrolled: 1-line block ×4, first 2 shown]
	v_fma_f64 v[44:45], v[14:15], s[0:1], v[168:169]
	v_fma_f64 v[208:209], v[34:35], s[0:1], -v[174:175]
	v_fma_f64 v[168:169], v[14:15], s[0:1], -v[168:169]
	v_fma_f64 v[174:175], v[34:35], s[0:1], v[174:175]
	v_fma_f64 v[210:211], v[14:15], s[2:3], v[61:62]
	v_fma_f64 v[14:15], v[14:15], s[2:3], -v[61:62]
	v_fma_f64 v[61:62], v[34:35], s[2:3], -v[76:77]
	v_fma_f64 v[34:35], v[34:35], s[2:3], v[76:77]
	v_add_f64_e32 v[160:161], v[70:71], v[160:161]
	v_add_f64_e32 v[196:197], v[68:69], v[196:197]
	;; [unrolled: 1-line block ×18, first 2 shown]
	v_fma_f64 v[78:79], v[96:97], s[0:1], v[108:109]
	v_fma_f64 v[180:181], v[102:103], s[0:1], -v[114:115]
	v_fma_f64 v[108:109], v[96:97], s[0:1], -v[108:109]
	v_fma_f64 v[114:115], v[102:103], s[0:1], v[114:115]
	v_fma_f64 v[76:77], v[96:97], s[2:3], v[144:145]
	v_fma_f64 v[70:71], v[102:103], s[2:3], -v[154:155]
	v_fma_f64 v[144:145], v[96:97], s[2:3], -v[144:145]
	v_fma_f64 v[154:155], v[102:103], s[2:3], v[154:155]
	v_add_f64_e32 v[80:81], v[80:81], v[178:179]
	v_add_f64_e32 v[182:183], v[182:183], v[184:185]
	;; [unrolled: 1-line block ×4, first 2 shown]
	v_fma_f64 v[18:19], v[96:97], s[12:13], v[166:167]
	v_fma_f64 v[42:43], v[102:103], s[12:13], -v[172:173]
	v_fma_f64 v[166:167], v[96:97], s[12:13], -v[166:167]
	v_fma_f64 v[172:173], v[102:103], s[12:13], v[172:173]
	v_fma_f64 v[67:68], v[96:97], s[6:7], v[6:7]
	v_fma_f64 v[6:7], v[96:97], s[6:7], -v[6:7]
	v_fma_f64 v[96:97], v[102:103], s[6:7], -v[38:39]
	v_fma_f64 v[38:39], v[102:103], s[6:7], v[38:39]
	v_mul_f64_e32 v[102:103], s[24:25], v[74:75]
	v_mul_f64_e32 v[74:75], s[14:15], v[74:75]
	v_add_f64_e32 v[14:15], v[14:15], v[160:161]
	v_add_f64_e32 v[190:191], v[194:195], v[196:197]
	;; [unrolled: 1-line block ×18, first 2 shown]
	v_mul_f64_e32 v[162:163], s[22:23], v[2:3]
	v_mul_f64_e32 v[2:3], s[16:17], v[2:3]
	v_fma_f64 v[184:185], v[94:95], s[2:3], v[106:107]
	v_fma_f64 v[118:119], v[100:101], s[2:3], -v[28:29]
	v_fma_f64 v[106:107], v[94:95], s[2:3], -v[106:107]
	v_fma_f64 v[138:139], v[94:95], s[12:13], v[122:123]
	v_fma_f64 v[122:123], v[94:95], s[12:13], -v[122:123]
	v_fma_f64 v[148:149], v[94:95], s[4:5], v[142:143]
	;; [unrolled: 2-line block ×4, first 2 shown]
	v_fma_f64 v[20:21], v[94:95], s[0:1], -v[20:21]
	v_add_f64_e32 v[78:79], v[78:79], v[80:81]
	v_add_f64_e32 v[80:81], v[180:181], v[182:183]
	;; [unrolled: 1-line block ×4, first 2 shown]
	v_mul_f64_e32 v[40:41], s[18:19], v[65:66]
	v_mul_f64_e32 v[150:151], s[14:15], v[65:66]
	;; [unrolled: 1-line block ×4, first 2 shown]
	v_fma_f64 v[174:175], v[100:101], s[0:1], -v[74:75]
	v_fma_f64 v[74:75], v[100:101], s[0:1], v[74:75]
	v_add_f64_e32 v[6:7], v[6:7], v[14:15]
	v_fma_f64 v[28:29], v[100:101], s[2:3], v[28:29]
	v_add_f64_e32 v[14:15], v[38:39], v[34:35]
	v_fma_f64 v[146:147], v[100:101], s[12:13], -v[132:133]
	v_fma_f64 v[132:133], v[100:101], s[12:13], v[132:133]
	v_fma_f64 v[156:157], v[100:101], s[4:5], -v[152:153]
	v_fma_f64 v[152:153], v[100:101], s[4:5], v[152:153]
	v_add_f64_e32 v[4:5], v[10:11], v[4:5]
	v_add_f64_e32 v[8:9], v[22:23], v[8:9]
	v_fma_f64 v[160:161], v[100:101], s[6:7], -v[102:103]
	v_fma_f64 v[102:103], v[100:101], s[6:7], v[102:103]
	v_add_f64_e32 v[100:101], v[114:115], v[116:117]
	v_add_f64_e32 v[110:111], v[192:193], v[190:191]
	v_add_f64_e32 v[10:11], v[166:167], v[26:27]
	v_add_f64_e32 v[22:23], v[172:173], v[30:31]
	v_add_f64_e32 v[114:115], v[126:127], v[128:129]
	v_add_f64_e32 v[116:117], v[144:145], v[134:135]
	v_add_f64_e32 v[26:27], v[154:155], v[48:49]
	v_add_f64_e32 v[63:64], v[63:64], v[124:125]
	v_add_f64_e32 v[16:17], v[76:77], v[16:17]
	v_add_f64_e32 v[30:31], v[70:71], v[46:47]
	v_add_f64_e32 v[18:19], v[18:19], v[44:45]
	v_add_f64_e32 v[12:13], v[42:43], v[12:13]
	v_add_f64_e32 v[34:35], v[67:68], v[136:137]
	v_add_f64_e32 v[38:39], v[96:97], v[61:62]
	v_fma_f64 v[178:179], v[92:93], s[6:7], v[104:105]
	v_fma_f64 v[104:105], v[92:93], s[6:7], -v[104:105]
	v_fma_f64 v[42:43], v[92:93], s[2:3], v[120:121]
	v_fma_f64 v[46:47], v[92:93], s[2:3], -v[120:121]
	v_fma_f64 v[61:62], v[92:93], s[0:1], v[140:141]
	v_fma_f64 v[69:70], v[92:93], s[0:1], -v[140:141]
	v_fma_f64 v[96:97], v[92:93], s[4:5], v[162:163]
	v_fma_f64 v[124:125], v[92:93], s[4:5], -v[162:163]
	v_fma_f64 v[128:129], v[92:93], s[12:13], v[2:3]
	v_fma_f64 v[92:93], v[92:93], s[12:13], -v[2:3]
	v_add_f64_e32 v[2:3], v[184:185], v[78:79]
	v_add_f64_e32 v[78:79], v[118:119], v[80:81]
	;; [unrolled: 1-line block ×4, first 2 shown]
	v_fma_f64 v[44:45], v[98:99], s[2:3], -v[130:131]
	v_fma_f64 v[48:49], v[98:99], s[2:3], v[130:131]
	v_fma_f64 v[130:131], v[98:99], s[12:13], -v[65:66]
	v_fma_f64 v[65:66], v[98:99], s[12:13], v[65:66]
	v_add_f64_e32 v[20:21], v[20:21], v[6:7]
	v_add_f64_e32 v[74:75], v[74:75], v[14:15]
	;; [unrolled: 1-line block ×4, first 2 shown]
	v_fma_f64 v[112:113], v[98:99], s[6:7], -v[40:41]
	v_fma_f64 v[40:41], v[98:99], s[6:7], v[40:41]
	v_fma_f64 v[67:68], v[98:99], s[0:1], -v[150:151]
	v_fma_f64 v[76:77], v[98:99], s[0:1], v[150:151]
	v_fma_f64 v[120:121], v[98:99], s[4:5], -v[170:171]
	v_fma_f64 v[126:127], v[98:99], s[4:5], v[170:171]
	v_add_f64_e32 v[28:29], v[28:29], v[100:101]
	v_add_f64_e32 v[98:99], v[146:147], v[110:111]
	;; [unrolled: 1-line block ×14, first 2 shown]
	s_wait_alu 0xfffd
	v_add_co_ci_u32_e32 v59, vcc_lo, v213, v60, vcc_lo
	v_add_co_u32 v52, vcc_lo, v212, v52
	s_wait_alu 0xfffd
	v_add_co_ci_u32_e32 v53, vcc_lo, v213, v53, vcc_lo
	v_add_f64_e32 v[2:3], v[178:179], v[2:3]
	v_add_co_u32 v54, vcc_lo, v212, v54
	v_add_f64_e32 v[6:7], v[104:105], v[80:81]
	v_add_f64_e32 v[10:11], v[42:43], v[94:95]
	s_wait_alu 0xfffd
	v_add_co_ci_u32_e32 v55, vcc_lo, v213, v55, vcc_lo
	v_add_co_u32 v56, vcc_lo, v212, v56
	v_add_f64_e32 v[22:23], v[92:93], v[20:21]
	v_add_f64_e32 v[26:27], v[24:25], v[108:109]
	;; [unrolled: 1-line block ×5, first 2 shown]
	s_wait_alu 0xfffd
	v_add_co_ci_u32_e32 v57, vcc_lo, v213, v57, vcc_lo
	v_lshlrev_b64_e32 v[50:51], 4, v[50:51]
	v_add_f64_e32 v[4:5], v[40:41], v[28:29]
	v_add_f64_e32 v[8:9], v[44:45], v[98:99]
	;; [unrolled: 1-line block ×14, first 2 shown]
	v_add_co_u32 v44, vcc_lo, v212, v72
	s_wait_alu 0xfffd
	v_add_co_ci_u32_e32 v45, vcc_lo, v213, v73, vcc_lo
	v_add_co_u32 v46, vcc_lo, v212, v82
	s_wait_alu 0xfffd
	v_add_co_ci_u32_e32 v47, vcc_lo, v213, v83, vcc_lo
	;; [unrolled: 3-line block ×7, first 2 shown]
	s_clause 0xa
	global_store_b128 v[58:59], v[24:27], off
	global_store_b128 v[52:53], v[20:23], off
	;; [unrolled: 1-line block ×11, first 2 shown]
.LBB0_26:
	s_nop 0
	s_sendmsg sendmsg(MSG_DEALLOC_VGPRS)
	s_endpgm
	.section	.rodata,"a",@progbits
	.p2align	6, 0x0
	.amdhsa_kernel fft_rtc_back_len561_factors_17_3_11_wgs_255_tpt_51_halfLds_dp_ip_CI_sbrr_dirReg
		.amdhsa_group_segment_fixed_size 0
		.amdhsa_private_segment_fixed_size 0
		.amdhsa_kernarg_size 88
		.amdhsa_user_sgpr_count 2
		.amdhsa_user_sgpr_dispatch_ptr 0
		.amdhsa_user_sgpr_queue_ptr 0
		.amdhsa_user_sgpr_kernarg_segment_ptr 1
		.amdhsa_user_sgpr_dispatch_id 0
		.amdhsa_user_sgpr_private_segment_size 0
		.amdhsa_wavefront_size32 1
		.amdhsa_uses_dynamic_stack 0
		.amdhsa_enable_private_segment 0
		.amdhsa_system_sgpr_workgroup_id_x 1
		.amdhsa_system_sgpr_workgroup_id_y 0
		.amdhsa_system_sgpr_workgroup_id_z 0
		.amdhsa_system_sgpr_workgroup_info 0
		.amdhsa_system_vgpr_workitem_id 0
		.amdhsa_next_free_vgpr 215
		.amdhsa_next_free_sgpr 58
		.amdhsa_reserve_vcc 1
		.amdhsa_float_round_mode_32 0
		.amdhsa_float_round_mode_16_64 0
		.amdhsa_float_denorm_mode_32 3
		.amdhsa_float_denorm_mode_16_64 3
		.amdhsa_fp16_overflow 0
		.amdhsa_workgroup_processor_mode 1
		.amdhsa_memory_ordered 1
		.amdhsa_forward_progress 0
		.amdhsa_round_robin_scheduling 0
		.amdhsa_exception_fp_ieee_invalid_op 0
		.amdhsa_exception_fp_denorm_src 0
		.amdhsa_exception_fp_ieee_div_zero 0
		.amdhsa_exception_fp_ieee_overflow 0
		.amdhsa_exception_fp_ieee_underflow 0
		.amdhsa_exception_fp_ieee_inexact 0
		.amdhsa_exception_int_div_zero 0
	.end_amdhsa_kernel
	.text
.Lfunc_end0:
	.size	fft_rtc_back_len561_factors_17_3_11_wgs_255_tpt_51_halfLds_dp_ip_CI_sbrr_dirReg, .Lfunc_end0-fft_rtc_back_len561_factors_17_3_11_wgs_255_tpt_51_halfLds_dp_ip_CI_sbrr_dirReg
                                        ; -- End function
	.section	.AMDGPU.csdata,"",@progbits
; Kernel info:
; codeLenInByte = 12528
; NumSgprs: 60
; NumVgprs: 215
; ScratchSize: 0
; MemoryBound: 1
; FloatMode: 240
; IeeeMode: 1
; LDSByteSize: 0 bytes/workgroup (compile time only)
; SGPRBlocks: 7
; VGPRBlocks: 26
; NumSGPRsForWavesPerEU: 60
; NumVGPRsForWavesPerEU: 215
; Occupancy: 7
; WaveLimiterHint : 1
; COMPUTE_PGM_RSRC2:SCRATCH_EN: 0
; COMPUTE_PGM_RSRC2:USER_SGPR: 2
; COMPUTE_PGM_RSRC2:TRAP_HANDLER: 0
; COMPUTE_PGM_RSRC2:TGID_X_EN: 1
; COMPUTE_PGM_RSRC2:TGID_Y_EN: 0
; COMPUTE_PGM_RSRC2:TGID_Z_EN: 0
; COMPUTE_PGM_RSRC2:TIDIG_COMP_CNT: 0
	.text
	.p2alignl 7, 3214868480
	.fill 96, 4, 3214868480
	.type	__hip_cuid_d687c10b522c52e0,@object ; @__hip_cuid_d687c10b522c52e0
	.section	.bss,"aw",@nobits
	.globl	__hip_cuid_d687c10b522c52e0
__hip_cuid_d687c10b522c52e0:
	.byte	0                               ; 0x0
	.size	__hip_cuid_d687c10b522c52e0, 1

	.ident	"AMD clang version 19.0.0git (https://github.com/RadeonOpenCompute/llvm-project roc-6.4.0 25133 c7fe45cf4b819c5991fe208aaa96edf142730f1d)"
	.section	".note.GNU-stack","",@progbits
	.addrsig
	.addrsig_sym __hip_cuid_d687c10b522c52e0
	.amdgpu_metadata
---
amdhsa.kernels:
  - .args:
      - .actual_access:  read_only
        .address_space:  global
        .offset:         0
        .size:           8
        .value_kind:     global_buffer
      - .offset:         8
        .size:           8
        .value_kind:     by_value
      - .actual_access:  read_only
        .address_space:  global
        .offset:         16
        .size:           8
        .value_kind:     global_buffer
      - .actual_access:  read_only
        .address_space:  global
        .offset:         24
        .size:           8
        .value_kind:     global_buffer
      - .offset:         32
        .size:           8
        .value_kind:     by_value
      - .actual_access:  read_only
        .address_space:  global
        .offset:         40
        .size:           8
        .value_kind:     global_buffer
      - .actual_access:  read_only
        .address_space:  global
        .offset:         48
        .size:           8
        .value_kind:     global_buffer
      - .offset:         56
        .size:           4
        .value_kind:     by_value
      - .actual_access:  read_only
        .address_space:  global
        .offset:         64
        .size:           8
        .value_kind:     global_buffer
      - .actual_access:  read_only
        .address_space:  global
        .offset:         72
        .size:           8
        .value_kind:     global_buffer
      - .address_space:  global
        .offset:         80
        .size:           8
        .value_kind:     global_buffer
    .group_segment_fixed_size: 0
    .kernarg_segment_align: 8
    .kernarg_segment_size: 88
    .language:       OpenCL C
    .language_version:
      - 2
      - 0
    .max_flat_workgroup_size: 255
    .name:           fft_rtc_back_len561_factors_17_3_11_wgs_255_tpt_51_halfLds_dp_ip_CI_sbrr_dirReg
    .private_segment_fixed_size: 0
    .sgpr_count:     60
    .sgpr_spill_count: 0
    .symbol:         fft_rtc_back_len561_factors_17_3_11_wgs_255_tpt_51_halfLds_dp_ip_CI_sbrr_dirReg.kd
    .uniform_work_group_size: 1
    .uses_dynamic_stack: false
    .vgpr_count:     215
    .vgpr_spill_count: 0
    .wavefront_size: 32
    .workgroup_processor_mode: 1
amdhsa.target:   amdgcn-amd-amdhsa--gfx1201
amdhsa.version:
  - 1
  - 2
...

	.end_amdgpu_metadata
